;; amdgpu-corpus repo=pytorch/pytorch kind=compiled arch=gfx906 opt=O3
	.amdgcn_target "amdgcn-amd-amdhsa--gfx906"
	.amdhsa_code_object_version 6
	.section	.text._ZN2at6native12_GLOBAL__N_135nll_loss2d_forward_no_reduce_kernelIdEEvlN5torch10headeronly6detail27GenericPackedTensorAccessorINS5_14TensorAccessorIN3c108ArrayRefIlEET_Lm3ENS4_16DefaultPtrTraitsElEENS_6detail16IndexBoundsCheckILm4ElEESB_Lm4ESC_lEENS6_INS7_ISA_lLm2ESC_lEENSF_ILm3ElEElLm3ESC_lEENS6_INS7_ISA_SB_Lm2ESC_lEESJ_SB_Lm3ESC_lEEPKSB_l,"axG",@progbits,_ZN2at6native12_GLOBAL__N_135nll_loss2d_forward_no_reduce_kernelIdEEvlN5torch10headeronly6detail27GenericPackedTensorAccessorINS5_14TensorAccessorIN3c108ArrayRefIlEET_Lm3ENS4_16DefaultPtrTraitsElEENS_6detail16IndexBoundsCheckILm4ElEESB_Lm4ESC_lEENS6_INS7_ISA_lLm2ESC_lEENSF_ILm3ElEElLm3ESC_lEENS6_INS7_ISA_SB_Lm2ESC_lEESJ_SB_Lm3ESC_lEEPKSB_l,comdat
	.globl	_ZN2at6native12_GLOBAL__N_135nll_loss2d_forward_no_reduce_kernelIdEEvlN5torch10headeronly6detail27GenericPackedTensorAccessorINS5_14TensorAccessorIN3c108ArrayRefIlEET_Lm3ENS4_16DefaultPtrTraitsElEENS_6detail16IndexBoundsCheckILm4ElEESB_Lm4ESC_lEENS6_INS7_ISA_lLm2ESC_lEENSF_ILm3ElEElLm3ESC_lEENS6_INS7_ISA_SB_Lm2ESC_lEESJ_SB_Lm3ESC_lEEPKSB_l ; -- Begin function _ZN2at6native12_GLOBAL__N_135nll_loss2d_forward_no_reduce_kernelIdEEvlN5torch10headeronly6detail27GenericPackedTensorAccessorINS5_14TensorAccessorIN3c108ArrayRefIlEET_Lm3ENS4_16DefaultPtrTraitsElEENS_6detail16IndexBoundsCheckILm4ElEESB_Lm4ESC_lEENS6_INS7_ISA_lLm2ESC_lEENSF_ILm3ElEElLm3ESC_lEENS6_INS7_ISA_SB_Lm2ESC_lEESJ_SB_Lm3ESC_lEEPKSB_l
	.p2align	8
	.type	_ZN2at6native12_GLOBAL__N_135nll_loss2d_forward_no_reduce_kernelIdEEvlN5torch10headeronly6detail27GenericPackedTensorAccessorINS5_14TensorAccessorIN3c108ArrayRefIlEET_Lm3ENS4_16DefaultPtrTraitsElEENS_6detail16IndexBoundsCheckILm4ElEESB_Lm4ESC_lEENS6_INS7_ISA_lLm2ESC_lEENSF_ILm3ElEElLm3ESC_lEENS6_INS7_ISA_SB_Lm2ESC_lEESJ_SB_Lm3ESC_lEEPKSB_l,@function
_ZN2at6native12_GLOBAL__N_135nll_loss2d_forward_no_reduce_kernelIdEEvlN5torch10headeronly6detail27GenericPackedTensorAccessorINS5_14TensorAccessorIN3c108ArrayRefIlEET_Lm3ENS4_16DefaultPtrTraitsElEENS_6detail16IndexBoundsCheckILm4ElEESB_Lm4ESC_lEENS6_INS7_ISA_lLm2ESC_lEENSF_ILm3ElEElLm3ESC_lEENS6_INS7_ISA_SB_Lm2ESC_lEESJ_SB_Lm3ESC_lEEPKSB_l: ; @_ZN2at6native12_GLOBAL__N_135nll_loss2d_forward_no_reduce_kernelIdEEvlN5torch10headeronly6detail27GenericPackedTensorAccessorINS5_14TensorAccessorIN3c108ArrayRefIlEET_Lm3ENS4_16DefaultPtrTraitsElEENS_6detail16IndexBoundsCheckILm4ElEESB_Lm4ESC_lEENS6_INS7_ISA_lLm2ESC_lEENSF_ILm3ElEElLm3ESC_lEENS6_INS7_ISA_SB_Lm2ESC_lEESJ_SB_Lm3ESC_lEEPKSB_l
; %bb.0:
	s_load_dword s2, s[4:5], 0xdc
	s_load_dwordx2 s[34:35], s[4:5], 0x0
	s_add_u32 s0, s4, 0xd0
	v_mov_b32_e32 v2, 0
	s_addc_u32 s1, s5, 0
	s_waitcnt lgkmcnt(0)
	s_and_b32 s2, s2, 0xffff
	v_mov_b32_e32 v1, v2
	v_mov_b32_e32 v3, s6
	v_mad_u64_u32 v[0:1], s[6:7], s2, v3, v[0:1]
	v_cmp_gt_i64_e32 vcc, s[34:35], v[0:1]
	s_and_saveexec_b64 s[6:7], vcc
	s_cbranch_execz .LBB0_29
; %bb.1:
	s_load_dwordx8 s[8:15], s[4:5], 0x10
	s_load_dwordx4 s[36:39], s[4:5], 0xc0
	s_load_dwordx2 s[6:7], s[4:5], 0x8
	s_load_dwordx8 s[16:23], s[4:5], 0x30
	s_load_dword s3, s[0:1], 0x0
	s_waitcnt lgkmcnt(0)
	s_mul_i32 s0, s12, s9
	s_mul_hi_u32 s1, s12, s8
	s_load_dwordx2 s[44:45], s[4:5], 0x50
	s_load_dwordx8 s[24:31], s[4:5], 0x70
	s_load_dwordx2 s[50:51], s[4:5], 0xb8
	s_load_dwordx4 s[40:43], s[4:5], 0xa8
	s_add_i32 s0, s1, s0
	s_mul_i32 s1, s13, s8
	s_add_i32 s33, s0, s1
	v_mov_b32_e32 v3, v0
	s_cmp_lg_u64 s[36:37], 0
	s_mul_i32 s59, s3, s2
	v_mov_b32_e32 v5, v3
	s_mul_i32 s58, s12, s8
	s_mov_b64 s[46:47], 0
	s_cselect_b64 s[48:49], -1, 0
	s_mov_b32 s60, s59
	v_mov_b32_e32 v4, v2
                                        ; implicit-def: $sgpr4_sgpr5
                                        ; implicit-def: $sgpr52_sgpr53
	s_branch .LBB0_3
.LBB0_2:                                ;   in Loop: Header=BB0_3 Depth=1
	s_or_b64 exec, exec, s[0:1]
	s_and_b64 s[0:1], exec, s[2:3]
	s_or_b64 s[46:47], s[0:1], s[46:47]
	s_andn2_b64 s[0:1], s[4:5], exec
	s_and_b64 s[2:3], s[52:53], exec
	s_or_b64 s[4:5], s[0:1], s[2:3]
	s_andn2_b64 exec, exec, s[46:47]
	s_cbranch_execz .LBB0_28
.LBB0_3:                                ; =>This Inner Loop Header: Depth=1
	v_ashrrev_i32_e32 v14, 31, v5
	v_or_b32_e32 v3, s9, v14
	v_cmp_ne_u64_e32 vcc, 0, v[2:3]
	v_mov_b32_e32 v15, v5
	v_ashrrev_i32_e32 v10, 31, v14
                                        ; implicit-def: $vgpr6_vgpr7
	s_and_saveexec_b64 s[0:1], vcc
	s_xor_b64 s[2:3], exec, s[0:1]
	s_cbranch_execz .LBB0_5
; %bb.4:                                ;   in Loop: Header=BB0_3 Depth=1
	s_ashr_i32 s54, s9, 31
	s_add_u32 s0, s8, s54
	s_mov_b32 s55, s54
	s_addc_u32 s1, s9, s54
	s_xor_b64 s[56:57], s[0:1], s[54:55]
	v_cvt_f32_u32_e32 v3, s56
	v_cvt_f32_u32_e32 v6, s57
	s_sub_u32 s55, 0, s56
	s_subb_u32 s61, 0, s57
	v_mac_f32_e32 v3, 0x4f800000, v6
	v_rcp_f32_e32 v3, v3
	v_mul_f32_e32 v3, 0x5f7ffffc, v3
	v_mul_f32_e32 v6, 0x2f800000, v3
	v_trunc_f32_e32 v6, v6
	v_mac_f32_e32 v3, 0xcf800000, v6
	v_cvt_u32_f32_e32 v6, v6
	v_cvt_u32_f32_e32 v3, v3
	v_readfirstlane_b32 s62, v6
	v_readfirstlane_b32 s0, v3
	s_mul_i32 s1, s55, s62
	s_mul_hi_u32 s64, s55, s0
	s_mul_i32 s63, s61, s0
	s_add_i32 s1, s64, s1
	s_add_i32 s1, s1, s63
	s_mul_i32 s65, s55, s0
	s_mul_i32 s64, s0, s1
	s_mul_hi_u32 s66, s0, s65
	s_mul_hi_u32 s63, s0, s1
	s_add_u32 s64, s66, s64
	s_addc_u32 s63, 0, s63
	s_mul_hi_u32 s67, s62, s65
	s_mul_i32 s65, s62, s65
	s_add_u32 s64, s64, s65
	s_mul_hi_u32 s66, s62, s1
	s_addc_u32 s63, s63, s67
	s_addc_u32 s64, s66, 0
	s_mul_i32 s1, s62, s1
	s_add_u32 s1, s63, s1
	s_addc_u32 s63, 0, s64
	s_add_u32 s64, s0, s1
	s_cselect_b64 s[0:1], -1, 0
	s_cmp_lg_u64 s[0:1], 0
	s_addc_u32 s62, s62, s63
	s_mul_i32 s0, s55, s62
	s_mul_hi_u32 s1, s55, s64
	s_add_i32 s0, s1, s0
	s_mul_i32 s61, s61, s64
	s_add_i32 s0, s0, s61
	s_mul_i32 s55, s55, s64
	s_mul_hi_u32 s61, s62, s55
	s_mul_i32 s63, s62, s55
	s_mul_i32 s66, s64, s0
	s_mul_hi_u32 s55, s64, s55
	s_mul_hi_u32 s65, s64, s0
	s_add_u32 s55, s55, s66
	s_addc_u32 s65, 0, s65
	s_add_u32 s55, s55, s63
	s_mul_hi_u32 s1, s62, s0
	s_addc_u32 s55, s65, s61
	s_addc_u32 s1, s1, 0
	s_mul_i32 s0, s62, s0
	s_add_u32 s0, s55, s0
	s_addc_u32 s55, 0, s1
	s_add_u32 s61, s64, s0
	s_cselect_b64 s[0:1], -1, 0
	s_cmp_lg_u64 s[0:1], 0
	v_add_co_u32_e32 v3, vcc, v15, v10
	s_addc_u32 s55, s62, s55
	v_xor_b32_e32 v3, v3, v10
	v_mad_u64_u32 v[6:7], s[0:1], v3, s55, 0
	v_mul_hi_u32 v9, v3, s61
	v_addc_co_u32_e32 v8, vcc, v14, v10, vcc
	v_xor_b32_e32 v11, v8, v10
	v_add_co_u32_e32 v12, vcc, v9, v6
	v_addc_co_u32_e32 v13, vcc, 0, v7, vcc
	v_mad_u64_u32 v[6:7], s[0:1], v11, s61, 0
	v_mad_u64_u32 v[8:9], s[0:1], v11, s55, 0
	v_add_co_u32_e32 v6, vcc, v12, v6
	v_addc_co_u32_e32 v6, vcc, v13, v7, vcc
	v_addc_co_u32_e32 v7, vcc, 0, v9, vcc
	v_add_co_u32_e32 v8, vcc, v6, v8
	v_addc_co_u32_e32 v9, vcc, 0, v7, vcc
	v_mul_lo_u32 v12, s57, v8
	v_mul_lo_u32 v13, s56, v9
	v_mad_u64_u32 v[6:7], s[0:1], s56, v8, 0
	v_add3_u32 v7, v7, v13, v12
	v_sub_u32_e32 v12, v11, v7
	v_mov_b32_e32 v13, s57
	v_sub_co_u32_e32 v3, vcc, v3, v6
	v_subb_co_u32_e64 v6, s[0:1], v12, v13, vcc
	v_subrev_co_u32_e64 v12, s[0:1], s56, v3
	v_subbrev_co_u32_e64 v6, s[0:1], 0, v6, s[0:1]
	v_cmp_le_u32_e64 s[0:1], s57, v6
	v_cndmask_b32_e64 v13, 0, -1, s[0:1]
	v_cmp_le_u32_e64 s[0:1], s56, v12
	v_cndmask_b32_e64 v12, 0, -1, s[0:1]
	v_cmp_eq_u32_e64 s[0:1], s57, v6
	v_cndmask_b32_e64 v6, v13, v12, s[0:1]
	v_add_co_u32_e64 v12, s[0:1], 2, v8
	v_subb_co_u32_e32 v7, vcc, v11, v7, vcc
	v_addc_co_u32_e64 v13, s[0:1], 0, v9, s[0:1]
	v_cmp_le_u32_e32 vcc, s57, v7
	v_add_co_u32_e64 v16, s[0:1], 1, v8
	v_cndmask_b32_e64 v11, 0, -1, vcc
	v_cmp_le_u32_e32 vcc, s56, v3
	v_addc_co_u32_e64 v17, s[0:1], 0, v9, s[0:1]
	v_cndmask_b32_e64 v3, 0, -1, vcc
	v_cmp_eq_u32_e32 vcc, s57, v7
	v_cmp_ne_u32_e64 s[0:1], 0, v6
	v_cndmask_b32_e32 v3, v11, v3, vcc
	v_cndmask_b32_e64 v6, v17, v13, s[0:1]
	v_cmp_ne_u32_e32 vcc, 0, v3
	v_cndmask_b32_e32 v3, v9, v6, vcc
	v_cndmask_b32_e64 v6, v16, v12, s[0:1]
	v_cndmask_b32_e32 v6, v8, v6, vcc
	v_xor_b32_e32 v7, s54, v10
	v_xor_b32_e32 v6, v6, v7
	;; [unrolled: 1-line block ×3, first 2 shown]
	v_sub_co_u32_e32 v6, vcc, v6, v7
	v_subb_co_u32_e32 v7, vcc, v3, v7, vcc
.LBB0_5:                                ;   in Loop: Header=BB0_3 Depth=1
	s_andn2_saveexec_b64 s[0:1], s[2:3]
	s_cbranch_execz .LBB0_7
; %bb.6:                                ;   in Loop: Header=BB0_3 Depth=1
	v_cvt_f32_u32_e32 v3, s8
	s_sub_i32 s2, 0, s8
	v_rcp_iflag_f32_e32 v3, v3
	v_mul_f32_e32 v3, 0x4f7ffffe, v3
	v_cvt_u32_f32_e32 v3, v3
	v_mul_lo_u32 v6, s2, v3
	v_mul_hi_u32 v6, v3, v6
	v_add_u32_e32 v3, v3, v6
	v_mul_hi_u32 v3, v15, v3
	v_mul_lo_u32 v6, v3, s8
	v_add_u32_e32 v7, 1, v3
	v_sub_u32_e32 v6, v15, v6
	v_subrev_u32_e32 v8, s8, v6
	v_cmp_le_u32_e32 vcc, s8, v6
	v_cndmask_b32_e32 v6, v6, v8, vcc
	v_cndmask_b32_e32 v3, v3, v7, vcc
	v_add_u32_e32 v7, 1, v3
	v_cmp_le_u32_e32 vcc, s8, v6
	v_cndmask_b32_e32 v6, v3, v7, vcc
	v_mov_b32_e32 v7, v2
.LBB0_7:                                ;   in Loop: Header=BB0_3 Depth=1
	s_or_b64 exec, exec, s[0:1]
	v_or_b32_e32 v3, s13, v7
	v_cmp_ne_u64_e32 vcc, 0, v[2:3]
                                        ; implicit-def: $vgpr8_vgpr9
	s_and_saveexec_b64 s[0:1], vcc
	s_xor_b64 s[54:55], exec, s[0:1]
	s_cbranch_execz .LBB0_9
; %bb.8:                                ;   in Loop: Header=BB0_3 Depth=1
	s_ashr_i32 s0, s13, 31
	s_add_u32 s2, s12, s0
	s_mov_b32 s1, s0
	s_addc_u32 s3, s13, s0
	s_xor_b64 s[56:57], s[2:3], s[0:1]
	v_cvt_f32_u32_e32 v3, s56
	v_cvt_f32_u32_e32 v8, s57
	s_sub_u32 s2, 0, s56
	s_subb_u32 s3, 0, s57
	v_mac_f32_e32 v3, 0x4f800000, v8
	v_rcp_f32_e32 v3, v3
	v_mul_f32_e32 v3, 0x5f7ffffc, v3
	v_mul_f32_e32 v8, 0x2f800000, v3
	v_trunc_f32_e32 v8, v8
	v_mac_f32_e32 v3, 0xcf800000, v8
	v_cvt_u32_f32_e32 v8, v8
	v_cvt_u32_f32_e32 v3, v3
	v_readfirstlane_b32 s61, v8
	v_readfirstlane_b32 s0, v3
	s_mul_i32 s1, s2, s61
	s_mul_hi_u32 s63, s2, s0
	s_mul_i32 s62, s3, s0
	s_add_i32 s1, s63, s1
	s_add_i32 s1, s1, s62
	s_mul_i32 s64, s2, s0
	s_mul_i32 s63, s0, s1
	s_mul_hi_u32 s65, s0, s64
	s_mul_hi_u32 s62, s0, s1
	s_add_u32 s63, s65, s63
	s_addc_u32 s62, 0, s62
	s_mul_hi_u32 s66, s61, s64
	s_mul_i32 s64, s61, s64
	s_add_u32 s63, s63, s64
	s_mul_hi_u32 s65, s61, s1
	s_addc_u32 s62, s62, s66
	s_addc_u32 s63, s65, 0
	s_mul_i32 s1, s61, s1
	s_add_u32 s1, s62, s1
	s_addc_u32 s62, 0, s63
	s_add_u32 s63, s0, s1
	s_cselect_b64 s[0:1], -1, 0
	s_cmp_lg_u64 s[0:1], 0
	s_addc_u32 s61, s61, s62
	s_mul_i32 s0, s2, s61
	s_mul_hi_u32 s1, s2, s63
	s_add_i32 s0, s1, s0
	s_mul_i32 s3, s3, s63
	s_add_i32 s0, s0, s3
	s_mul_i32 s2, s2, s63
	s_mul_hi_u32 s3, s61, s2
	s_mul_i32 s62, s61, s2
	s_mul_i32 s65, s63, s0
	s_mul_hi_u32 s2, s63, s2
	s_mul_hi_u32 s64, s63, s0
	s_add_u32 s2, s2, s65
	s_addc_u32 s64, 0, s64
	s_add_u32 s2, s2, s62
	s_mul_hi_u32 s1, s61, s0
	s_addc_u32 s2, s64, s3
	s_addc_u32 s1, s1, 0
	s_mul_i32 s0, s61, s0
	s_add_u32 s0, s2, s0
	s_addc_u32 s2, 0, s1
	s_add_u32 s3, s63, s0
	s_cselect_b64 s[0:1], -1, 0
	v_ashrrev_i32_e32 v3, 31, v7
	s_cmp_lg_u64 s[0:1], 0
	v_add_co_u32_e32 v8, vcc, v6, v3
	s_addc_u32 s2, s61, s2
	v_xor_b32_e32 v13, v8, v3
	v_mad_u64_u32 v[8:9], s[0:1], v13, s2, 0
	v_mul_hi_u32 v12, v13, s3
	v_addc_co_u32_e32 v11, vcc, v7, v3, vcc
	v_xor_b32_e32 v16, v11, v3
	v_add_co_u32_e32 v17, vcc, v12, v8
	v_addc_co_u32_e32 v18, vcc, 0, v9, vcc
	v_mad_u64_u32 v[8:9], s[0:1], v16, s3, 0
	v_mad_u64_u32 v[11:12], s[0:1], v16, s2, 0
	v_add_co_u32_e32 v8, vcc, v17, v8
	v_addc_co_u32_e32 v8, vcc, v18, v9, vcc
	v_addc_co_u32_e32 v9, vcc, 0, v12, vcc
	v_add_co_u32_e32 v8, vcc, v8, v11
	v_addc_co_u32_e32 v9, vcc, 0, v9, vcc
	v_mul_lo_u32 v11, s57, v8
	v_mul_lo_u32 v12, s56, v9
	v_mad_u64_u32 v[8:9], s[0:1], s56, v8, 0
	v_add3_u32 v9, v9, v12, v11
	v_sub_u32_e32 v11, v16, v9
	v_mov_b32_e32 v12, s57
	v_sub_co_u32_e32 v8, vcc, v13, v8
	v_subb_co_u32_e64 v11, s[0:1], v11, v12, vcc
	v_subrev_co_u32_e64 v13, s[0:1], s56, v8
	v_subbrev_co_u32_e64 v17, s[2:3], 0, v11, s[0:1]
	v_cmp_le_u32_e64 s[2:3], s57, v17
	v_cndmask_b32_e64 v18, 0, -1, s[2:3]
	v_cmp_le_u32_e64 s[2:3], s56, v13
	v_subb_co_u32_e64 v11, s[0:1], v11, v12, s[0:1]
	v_cndmask_b32_e64 v19, 0, -1, s[2:3]
	v_cmp_eq_u32_e64 s[2:3], s57, v17
	v_subrev_co_u32_e64 v12, s[0:1], s56, v13
	v_subb_co_u32_e32 v9, vcc, v16, v9, vcc
	v_cndmask_b32_e64 v18, v18, v19, s[2:3]
	v_subbrev_co_u32_e64 v11, s[0:1], 0, v11, s[0:1]
	v_cmp_le_u32_e32 vcc, s57, v9
	v_cmp_ne_u32_e64 s[0:1], 0, v18
	v_cndmask_b32_e64 v16, 0, -1, vcc
	v_cmp_le_u32_e32 vcc, s56, v8
	v_cndmask_b32_e64 v11, v17, v11, s[0:1]
	v_cndmask_b32_e64 v17, 0, -1, vcc
	v_cmp_eq_u32_e32 vcc, s57, v9
	v_cndmask_b32_e32 v16, v16, v17, vcc
	v_cmp_ne_u32_e32 vcc, 0, v16
	v_cndmask_b32_e32 v9, v9, v11, vcc
	v_cndmask_b32_e64 v11, v13, v12, s[0:1]
	v_cndmask_b32_e32 v8, v8, v11, vcc
	v_xor_b32_e32 v8, v8, v3
	v_xor_b32_e32 v9, v9, v3
	v_sub_co_u32_e32 v8, vcc, v8, v3
	v_subb_co_u32_e32 v9, vcc, v9, v3, vcc
.LBB0_9:                                ;   in Loop: Header=BB0_3 Depth=1
	s_andn2_saveexec_b64 s[0:1], s[54:55]
	s_cbranch_execz .LBB0_11
; %bb.10:                               ;   in Loop: Header=BB0_3 Depth=1
	v_cvt_f32_u32_e32 v3, s12
	s_sub_i32 s2, 0, s12
	v_mov_b32_e32 v9, v2
	v_rcp_iflag_f32_e32 v3, v3
	v_mul_f32_e32 v3, 0x4f7ffffe, v3
	v_cvt_u32_f32_e32 v3, v3
	v_mul_lo_u32 v8, s2, v3
	v_mul_hi_u32 v8, v3, v8
	v_add_u32_e32 v3, v3, v8
	v_mul_hi_u32 v3, v6, v3
	v_mul_lo_u32 v3, v3, s12
	v_sub_u32_e32 v3, v6, v3
	v_subrev_u32_e32 v8, s12, v3
	v_cmp_le_u32_e32 vcc, s12, v3
	v_cndmask_b32_e32 v3, v3, v8, vcc
	v_subrev_u32_e32 v8, s12, v3
	v_cmp_le_u32_e32 vcc, s12, v3
	v_cndmask_b32_e32 v8, v3, v8, vcc
.LBB0_11:                               ;   in Loop: Header=BB0_3 Depth=1
	s_or_b64 exec, exec, s[0:1]
	v_or_b32_e32 v3, s33, v14
	v_cmp_ne_u64_e32 vcc, 0, v[2:3]
                                        ; implicit-def: $vgpr12_vgpr13
	s_and_saveexec_b64 s[0:1], vcc
	s_xor_b64 s[2:3], exec, s[0:1]
	s_cbranch_execz .LBB0_13
; %bb.12:                               ;   in Loop: Header=BB0_3 Depth=1
	s_ashr_i32 s54, s33, 31
	s_add_u32 s0, s58, s54
	s_mov_b32 s55, s54
	s_addc_u32 s1, s33, s54
	s_xor_b64 s[56:57], s[0:1], s[54:55]
	v_cvt_f32_u32_e32 v3, s56
	v_cvt_f32_u32_e32 v11, s57
	s_sub_u32 s55, 0, s56
	s_subb_u32 s61, 0, s57
	v_mac_f32_e32 v3, 0x4f800000, v11
	v_rcp_f32_e32 v3, v3
	v_mul_f32_e32 v3, 0x5f7ffffc, v3
	v_mul_f32_e32 v11, 0x2f800000, v3
	v_trunc_f32_e32 v11, v11
	v_mac_f32_e32 v3, 0xcf800000, v11
	v_cvt_u32_f32_e32 v11, v11
	v_cvt_u32_f32_e32 v3, v3
	v_readfirstlane_b32 s62, v11
	v_readfirstlane_b32 s0, v3
	s_mul_i32 s1, s55, s62
	s_mul_hi_u32 s64, s55, s0
	s_mul_i32 s63, s61, s0
	s_add_i32 s1, s64, s1
	s_add_i32 s1, s1, s63
	s_mul_i32 s65, s55, s0
	s_mul_i32 s64, s0, s1
	s_mul_hi_u32 s66, s0, s65
	s_mul_hi_u32 s63, s0, s1
	s_add_u32 s64, s66, s64
	s_addc_u32 s63, 0, s63
	s_mul_hi_u32 s67, s62, s65
	s_mul_i32 s65, s62, s65
	s_add_u32 s64, s64, s65
	s_mul_hi_u32 s66, s62, s1
	s_addc_u32 s63, s63, s67
	s_addc_u32 s64, s66, 0
	s_mul_i32 s1, s62, s1
	s_add_u32 s1, s63, s1
	s_addc_u32 s63, 0, s64
	s_add_u32 s64, s0, s1
	s_cselect_b64 s[0:1], -1, 0
	s_cmp_lg_u64 s[0:1], 0
	s_addc_u32 s62, s62, s63
	s_mul_i32 s0, s55, s62
	s_mul_hi_u32 s1, s55, s64
	s_add_i32 s0, s1, s0
	s_mul_i32 s61, s61, s64
	s_add_i32 s0, s0, s61
	s_mul_i32 s55, s55, s64
	s_mul_hi_u32 s61, s62, s55
	s_mul_i32 s63, s62, s55
	s_mul_i32 s66, s64, s0
	s_mul_hi_u32 s55, s64, s55
	s_mul_hi_u32 s65, s64, s0
	s_add_u32 s55, s55, s66
	s_addc_u32 s65, 0, s65
	s_add_u32 s55, s55, s63
	s_mul_hi_u32 s1, s62, s0
	s_addc_u32 s55, s65, s61
	s_addc_u32 s1, s1, 0
	s_mul_i32 s0, s62, s0
	s_add_u32 s0, s55, s0
	s_addc_u32 s55, 0, s1
	s_add_u32 s61, s64, s0
	s_cselect_b64 s[0:1], -1, 0
	s_cmp_lg_u64 s[0:1], 0
	v_add_co_u32_e32 v3, vcc, v15, v10
	s_addc_u32 s55, s62, s55
	v_xor_b32_e32 v3, v3, v10
	v_mad_u64_u32 v[11:12], s[0:1], v3, s55, 0
	v_mul_hi_u32 v16, v3, s61
	v_addc_co_u32_e32 v13, vcc, v14, v10, vcc
	v_xor_b32_e32 v13, v13, v10
	v_add_co_u32_e32 v18, vcc, v16, v11
	v_addc_co_u32_e32 v19, vcc, 0, v12, vcc
	v_mad_u64_u32 v[11:12], s[0:1], v13, s61, 0
	v_mad_u64_u32 v[16:17], s[0:1], v13, s55, 0
	v_add_co_u32_e32 v11, vcc, v18, v11
	v_addc_co_u32_e32 v11, vcc, v19, v12, vcc
	v_addc_co_u32_e32 v12, vcc, 0, v17, vcc
	v_add_co_u32_e32 v16, vcc, v11, v16
	v_addc_co_u32_e32 v17, vcc, 0, v12, vcc
	v_mul_lo_u32 v18, s57, v16
	v_mul_lo_u32 v19, s56, v17
	v_mad_u64_u32 v[11:12], s[0:1], s56, v16, 0
	v_xor_b32_e32 v10, s54, v10
	v_add3_u32 v12, v12, v19, v18
	v_sub_u32_e32 v18, v13, v12
	v_mov_b32_e32 v19, s57
	v_sub_co_u32_e32 v3, vcc, v3, v11
	v_subb_co_u32_e64 v11, s[0:1], v18, v19, vcc
	v_subrev_co_u32_e64 v18, s[0:1], s56, v3
	v_subbrev_co_u32_e64 v11, s[0:1], 0, v11, s[0:1]
	v_cmp_le_u32_e64 s[0:1], s57, v11
	v_cndmask_b32_e64 v19, 0, -1, s[0:1]
	v_cmp_le_u32_e64 s[0:1], s56, v18
	v_cndmask_b32_e64 v18, 0, -1, s[0:1]
	v_cmp_eq_u32_e64 s[0:1], s57, v11
	v_cndmask_b32_e64 v11, v19, v18, s[0:1]
	v_add_co_u32_e64 v18, s[0:1], 2, v16
	v_subb_co_u32_e32 v12, vcc, v13, v12, vcc
	v_addc_co_u32_e64 v19, s[0:1], 0, v17, s[0:1]
	v_cmp_le_u32_e32 vcc, s57, v12
	v_add_co_u32_e64 v20, s[0:1], 1, v16
	v_cndmask_b32_e64 v13, 0, -1, vcc
	v_cmp_le_u32_e32 vcc, s56, v3
	v_addc_co_u32_e64 v21, s[0:1], 0, v17, s[0:1]
	v_cndmask_b32_e64 v3, 0, -1, vcc
	v_cmp_eq_u32_e32 vcc, s57, v12
	v_cmp_ne_u32_e64 s[0:1], 0, v11
	v_cndmask_b32_e32 v3, v13, v3, vcc
	v_cndmask_b32_e64 v11, v21, v19, s[0:1]
	v_cmp_ne_u32_e32 vcc, 0, v3
	v_cndmask_b32_e32 v3, v17, v11, vcc
	v_cndmask_b32_e64 v11, v20, v18, s[0:1]
	v_cndmask_b32_e32 v11, v16, v11, vcc
	v_xor_b32_e32 v11, v11, v10
	v_xor_b32_e32 v3, v3, v10
	v_sub_co_u32_e32 v12, vcc, v11, v10
	v_subb_co_u32_e32 v13, vcc, v3, v10, vcc
.LBB0_13:                               ;   in Loop: Header=BB0_3 Depth=1
	s_andn2_saveexec_b64 s[0:1], s[2:3]
	s_cbranch_execz .LBB0_15
; %bb.14:                               ;   in Loop: Header=BB0_3 Depth=1
	v_cvt_f32_u32_e32 v3, s58
	s_sub_i32 s2, 0, s58
	v_mov_b32_e32 v13, v2
	v_rcp_iflag_f32_e32 v3, v3
	v_mul_f32_e32 v3, 0x4f7ffffe, v3
	v_cvt_u32_f32_e32 v3, v3
	v_mul_lo_u32 v10, s2, v3
	v_mul_hi_u32 v10, v3, v10
	v_add_u32_e32 v3, v3, v10
	v_mul_hi_u32 v3, v5, v3
	v_mul_lo_u32 v10, v3, s58
	v_add_u32_e32 v11, 1, v3
	v_sub_u32_e32 v10, v5, v10
	v_subrev_u32_e32 v12, s58, v10
	v_cmp_le_u32_e32 vcc, s58, v10
	v_cndmask_b32_e32 v10, v10, v12, vcc
	v_cndmask_b32_e32 v3, v3, v11, vcc
	v_add_u32_e32 v11, 1, v3
	v_cmp_le_u32_e32 vcc, s58, v10
	v_cndmask_b32_e32 v12, v3, v11, vcc
.LBB0_15:                               ;   in Loop: Header=BB0_3 Depth=1
	s_or_b64 exec, exec, s[0:1]
	v_or_b32_e32 v3, s15, v13
	v_cmp_ne_u64_e32 vcc, 0, v[2:3]
                                        ; implicit-def: $vgpr10_vgpr11
	s_and_saveexec_b64 s[0:1], vcc
	s_xor_b64 s[54:55], exec, s[0:1]
	s_cbranch_execz .LBB0_17
; %bb.16:                               ;   in Loop: Header=BB0_3 Depth=1
	s_ashr_i32 s0, s15, 31
	s_add_u32 s2, s14, s0
	s_mov_b32 s1, s0
	s_addc_u32 s3, s15, s0
	s_xor_b64 s[56:57], s[2:3], s[0:1]
	v_cvt_f32_u32_e32 v3, s56
	v_cvt_f32_u32_e32 v10, s57
	s_sub_u32 s2, 0, s56
	s_subb_u32 s3, 0, s57
	v_mac_f32_e32 v3, 0x4f800000, v10
	v_rcp_f32_e32 v3, v3
	v_mul_f32_e32 v3, 0x5f7ffffc, v3
	v_mul_f32_e32 v10, 0x2f800000, v3
	v_trunc_f32_e32 v10, v10
	v_mac_f32_e32 v3, 0xcf800000, v10
	v_cvt_u32_f32_e32 v10, v10
	v_cvt_u32_f32_e32 v3, v3
	v_readfirstlane_b32 s61, v10
	v_readfirstlane_b32 s0, v3
	s_mul_i32 s1, s2, s61
	s_mul_hi_u32 s63, s2, s0
	s_mul_i32 s62, s3, s0
	s_add_i32 s1, s63, s1
	s_add_i32 s1, s1, s62
	s_mul_i32 s64, s2, s0
	s_mul_i32 s63, s0, s1
	s_mul_hi_u32 s65, s0, s64
	s_mul_hi_u32 s62, s0, s1
	s_add_u32 s63, s65, s63
	s_addc_u32 s62, 0, s62
	s_mul_hi_u32 s66, s61, s64
	s_mul_i32 s64, s61, s64
	s_add_u32 s63, s63, s64
	s_mul_hi_u32 s65, s61, s1
	s_addc_u32 s62, s62, s66
	s_addc_u32 s63, s65, 0
	s_mul_i32 s1, s61, s1
	s_add_u32 s1, s62, s1
	s_addc_u32 s62, 0, s63
	s_add_u32 s63, s0, s1
	s_cselect_b64 s[0:1], -1, 0
	s_cmp_lg_u64 s[0:1], 0
	s_addc_u32 s61, s61, s62
	s_mul_i32 s0, s2, s61
	s_mul_hi_u32 s1, s2, s63
	s_add_i32 s0, s1, s0
	s_mul_i32 s3, s3, s63
	s_add_i32 s0, s0, s3
	s_mul_i32 s2, s2, s63
	s_mul_hi_u32 s3, s61, s2
	s_mul_i32 s62, s61, s2
	s_mul_i32 s65, s63, s0
	s_mul_hi_u32 s2, s63, s2
	s_mul_hi_u32 s64, s63, s0
	s_add_u32 s2, s2, s65
	s_addc_u32 s64, 0, s64
	s_add_u32 s2, s2, s62
	s_mul_hi_u32 s1, s61, s0
	s_addc_u32 s2, s64, s3
	s_addc_u32 s1, s1, 0
	s_mul_i32 s0, s61, s0
	s_add_u32 s0, s2, s0
	s_addc_u32 s2, 0, s1
	s_add_u32 s3, s63, s0
	s_cselect_b64 s[0:1], -1, 0
	v_ashrrev_i32_e32 v3, 31, v13
	s_cmp_lg_u64 s[0:1], 0
	v_add_co_u32_e32 v10, vcc, v12, v3
	s_addc_u32 s2, s61, s2
	v_xor_b32_e32 v16, v10, v3
	v_addc_co_u32_e32 v12, vcc, v13, v3, vcc
	v_mad_u64_u32 v[10:11], s[0:1], v16, s2, 0
	v_mul_hi_u32 v13, v16, s3
	v_xor_b32_e32 v17, v12, v3
	v_add_co_u32_e32 v18, vcc, v13, v10
	v_addc_co_u32_e32 v19, vcc, 0, v11, vcc
	v_mad_u64_u32 v[10:11], s[0:1], v17, s3, 0
	v_mad_u64_u32 v[12:13], s[0:1], v17, s2, 0
	v_add_co_u32_e32 v10, vcc, v18, v10
	v_addc_co_u32_e32 v10, vcc, v19, v11, vcc
	v_addc_co_u32_e32 v11, vcc, 0, v13, vcc
	v_add_co_u32_e32 v10, vcc, v10, v12
	v_addc_co_u32_e32 v11, vcc, 0, v11, vcc
	v_mul_lo_u32 v12, s57, v10
	v_mul_lo_u32 v13, s56, v11
	v_mad_u64_u32 v[10:11], s[0:1], s56, v10, 0
	v_add3_u32 v11, v11, v13, v12
	v_sub_u32_e32 v12, v17, v11
	v_mov_b32_e32 v13, s57
	v_sub_co_u32_e32 v10, vcc, v16, v10
	v_subb_co_u32_e64 v12, s[0:1], v12, v13, vcc
	v_subrev_co_u32_e64 v16, s[0:1], s56, v10
	v_subbrev_co_u32_e64 v18, s[2:3], 0, v12, s[0:1]
	v_cmp_le_u32_e64 s[2:3], s57, v18
	v_cndmask_b32_e64 v19, 0, -1, s[2:3]
	v_cmp_le_u32_e64 s[2:3], s56, v16
	v_subb_co_u32_e64 v12, s[0:1], v12, v13, s[0:1]
	v_cndmask_b32_e64 v20, 0, -1, s[2:3]
	v_cmp_eq_u32_e64 s[2:3], s57, v18
	v_subrev_co_u32_e64 v13, s[0:1], s56, v16
	v_subb_co_u32_e32 v11, vcc, v17, v11, vcc
	v_cndmask_b32_e64 v19, v19, v20, s[2:3]
	v_subbrev_co_u32_e64 v12, s[0:1], 0, v12, s[0:1]
	v_cmp_le_u32_e32 vcc, s57, v11
	v_cmp_ne_u32_e64 s[0:1], 0, v19
	v_cndmask_b32_e64 v17, 0, -1, vcc
	v_cmp_le_u32_e32 vcc, s56, v10
	v_cndmask_b32_e64 v12, v18, v12, s[0:1]
	v_cndmask_b32_e64 v18, 0, -1, vcc
	v_cmp_eq_u32_e32 vcc, s57, v11
	v_cndmask_b32_e32 v17, v17, v18, vcc
	v_cmp_ne_u32_e32 vcc, 0, v17
	v_cndmask_b32_e32 v11, v11, v12, vcc
	v_cndmask_b32_e64 v12, v16, v13, s[0:1]
	v_cndmask_b32_e32 v10, v10, v12, vcc
	v_xor_b32_e32 v10, v10, v3
	v_xor_b32_e32 v11, v11, v3
	v_sub_co_u32_e32 v10, vcc, v10, v3
	v_subb_co_u32_e32 v11, vcc, v11, v3, vcc
                                        ; implicit-def: $vgpr12_vgpr13
.LBB0_17:                               ;   in Loop: Header=BB0_3 Depth=1
	s_andn2_saveexec_b64 s[0:1], s[54:55]
	s_cbranch_execz .LBB0_19
; %bb.18:                               ;   in Loop: Header=BB0_3 Depth=1
	v_cvt_f32_u32_e32 v3, s14
	s_sub_i32 s2, 0, s14
	v_mov_b32_e32 v11, v2
	v_rcp_iflag_f32_e32 v3, v3
	v_mul_f32_e32 v3, 0x4f7ffffe, v3
	v_cvt_u32_f32_e32 v3, v3
	v_mul_lo_u32 v10, s2, v3
	v_mul_hi_u32 v10, v3, v10
	v_add_u32_e32 v3, v3, v10
	v_mul_hi_u32 v3, v12, v3
	v_mul_lo_u32 v3, v3, s14
	v_sub_u32_e32 v3, v12, v3
	v_subrev_u32_e32 v10, s14, v3
	v_cmp_le_u32_e32 vcc, s14, v3
	v_cndmask_b32_e32 v3, v3, v10, vcc
	v_subrev_u32_e32 v10, s14, v3
	v_cmp_le_u32_e32 vcc, s14, v3
	v_cndmask_b32_e32 v10, v3, v10, vcc
.LBB0_19:                               ;   in Loop: Header=BB0_3 Depth=1
	s_or_b64 exec, exec, s[0:1]
	v_mul_lo_u32 v3, v7, s8
	v_mul_lo_u32 v12, v6, s9
	v_mad_u64_u32 v[6:7], s[0:1], v6, s8, 0
	s_waitcnt lgkmcnt(0)
	v_mul_lo_u32 v16, s27, v8
	v_mul_lo_u32 v17, s26, v9
	v_add3_u32 v7, v7, v12, v3
	v_sub_co_u32_e32 v3, vcc, v15, v6
	v_subb_co_u32_e32 v14, vcc, v14, v7, vcc
	v_mul_lo_u32 v12, s25, v3
	v_mul_lo_u32 v13, s24, v14
	v_mad_u64_u32 v[6:7], s[0:1], s24, v3, 0
	v_mov_b32_e32 v15, s45
	s_mov_b64 s[2:3], -1
	v_add3_u32 v7, v7, v13, v12
	v_mad_u64_u32 v[12:13], s[0:1], s26, v8, 0
	v_lshlrev_b64 v[6:7], 3, v[6:7]
	s_mov_b64 s[56:57], -1
	v_add_co_u32_e32 v18, vcc, s44, v6
	v_add3_u32 v13, v13, v17, v16
	v_addc_co_u32_e32 v15, vcc, v15, v7, vcc
	v_lshlrev_b64 v[6:7], 3, v[12:13]
	v_mul_lo_u32 v16, s29, v10
	v_mul_lo_u32 v17, s28, v11
	v_mad_u64_u32 v[12:13], s[0:1], s28, v10, 0
	v_add_co_u32_e32 v18, vcc, v18, v6
	v_add3_u32 v13, v13, v17, v16
	v_addc_co_u32_e32 v15, vcc, v15, v7, vcc
	v_lshlrev_b64 v[6:7], 3, v[12:13]
	v_add_co_u32_e32 v6, vcc, v18, v6
	v_addc_co_u32_e32 v7, vcc, v15, v7, vcc
	global_load_dwordx2 v[12:13], v[6:7], off
	v_mov_b32_e32 v6, 0
	v_mov_b32_e32 v7, 0
	s_waitcnt vmcnt(0)
	v_cmp_ne_u64_e32 vcc, s[38:39], v[12:13]
	s_and_saveexec_b64 s[54:55], vcc
	s_cbranch_execz .LBB0_26
; %bb.20:                               ;   in Loop: Header=BB0_3 Depth=1
	v_cmp_lt_i64_e32 vcc, -1, v[12:13]
	v_cmp_gt_i64_e64 s[0:1], s[10:11], v[12:13]
	v_mov_b32_e32 v6, 0
	s_and_b64 s[62:63], vcc, s[0:1]
	v_mov_b32_e32 v7, 0
	s_mov_b64 s[56:57], 0
	s_and_saveexec_b64 s[0:1], s[62:63]
	s_cbranch_execz .LBB0_25
; %bb.21:                               ;   in Loop: Header=BB0_3 Depth=1
	v_mul_lo_u32 v15, s17, v3
	v_mul_lo_u32 v16, s16, v14
	v_mad_u64_u32 v[6:7], s[56:57], s16, v3, 0
	v_mul_lo_u32 v18, s19, v12
	v_mul_lo_u32 v19, s18, v13
	v_add3_u32 v7, v7, v16, v15
	v_mad_u64_u32 v[15:16], s[56:57], s18, v12, 0
	v_lshlrev_b64 v[6:7], 3, v[6:7]
	v_mov_b32_e32 v17, s7
	v_add_co_u32_e32 v20, vcc, s6, v6
	v_add3_u32 v16, v16, v19, v18
	v_addc_co_u32_e32 v17, vcc, v17, v7, vcc
	v_lshlrev_b64 v[6:7], 3, v[15:16]
	v_mul_lo_u32 v18, s21, v8
	v_mul_lo_u32 v19, s20, v9
	v_mad_u64_u32 v[15:16], s[56:57], s20, v8, 0
	v_add_co_u32_e32 v20, vcc, v20, v6
	v_add3_u32 v16, v16, v19, v18
	v_addc_co_u32_e32 v17, vcc, v17, v7, vcc
	v_lshlrev_b64 v[6:7], 3, v[15:16]
	v_mul_lo_u32 v18, s23, v10
	v_mul_lo_u32 v19, s22, v11
	v_mad_u64_u32 v[15:16], s[56:57], s22, v10, 0
	v_add_co_u32_e32 v20, vcc, v20, v6
	v_add3_u32 v16, v16, v19, v18
	v_addc_co_u32_e32 v17, vcc, v17, v7, vcc
	v_lshlrev_b64 v[6:7], 3, v[15:16]
	v_add_co_u32_e32 v6, vcc, v20, v6
	v_addc_co_u32_e32 v7, vcc, v17, v7, vcc
	global_load_dwordx2 v[6:7], v[6:7], off
	s_andn2_b64 vcc, exec, s[48:49]
	s_cbranch_vccnz .LBB0_23
; %bb.22:                               ;   in Loop: Header=BB0_3 Depth=1
	v_lshlrev_b64 v[12:13], 3, v[12:13]
	v_mov_b32_e32 v15, s37
	v_add_co_u32_e32 v12, vcc, s36, v12
	v_addc_co_u32_e32 v13, vcc, v15, v13, vcc
	global_load_dwordx2 v[12:13], v[12:13], off
	s_branch .LBB0_24
.LBB0_23:                               ;   in Loop: Header=BB0_3 Depth=1
	v_mov_b32_e32 v12, 0
	v_mov_b32_e32 v13, 0x3ff00000
.LBB0_24:                               ;   in Loop: Header=BB0_3 Depth=1
	s_mov_b64 s[56:57], exec
	s_waitcnt vmcnt(0)
	v_mul_f64 v[6:7], v[12:13], -v[6:7]
.LBB0_25:                               ;   in Loop: Header=BB0_3 Depth=1
	s_or_b64 exec, exec, s[0:1]
	s_orn2_b64 s[56:57], s[56:57], exec
.LBB0_26:                               ;   in Loop: Header=BB0_3 Depth=1
	s_or_b64 exec, exec, s[54:55]
	s_or_b64 s[52:53], s[52:53], exec
	s_and_saveexec_b64 s[0:1], s[56:57]
	s_cbranch_execz .LBB0_2
; %bb.27:                               ;   in Loop: Header=BB0_3 Depth=1
	v_mul_lo_u32 v15, s41, v3
	v_mul_lo_u32 v14, s40, v14
	v_mad_u64_u32 v[12:13], s[2:3], s40, v3, 0
	v_mov_b32_e32 v3, s31
	s_andn2_b64 s[52:53], s[52:53], exec
	v_add3_u32 v13, v13, v14, v15
	v_mul_lo_u32 v14, s43, v8
	v_mul_lo_u32 v15, s42, v9
	v_mad_u64_u32 v[8:9], s[2:3], s42, v8, 0
	v_lshlrev_b64 v[12:13], 3, v[12:13]
	v_add_co_u32_e32 v12, vcc, s30, v12
	v_addc_co_u32_e32 v3, vcc, v3, v13, vcc
	v_add3_u32 v9, v9, v15, v14
	v_mul_lo_u32 v13, s51, v10
	v_mul_lo_u32 v14, s50, v11
	v_mad_u64_u32 v[10:11], s[2:3], s50, v10, 0
	v_lshlrev_b64 v[8:9], 3, v[8:9]
	v_add_co_u32_e32 v12, vcc, v12, v8
	v_add3_u32 v11, v11, v14, v13
	v_addc_co_u32_e32 v3, vcc, v3, v9, vcc
	v_lshlrev_b64 v[8:9], 3, v[10:11]
	v_add_co_u32_e32 v8, vcc, v12, v8
	v_addc_co_u32_e32 v9, vcc, v3, v9, vcc
	v_add_co_u32_e32 v0, vcc, s59, v0
	v_addc_co_u32_e32 v1, vcc, 0, v1, vcc
	v_mov_b32_e32 v3, s60
	v_add_co_u32_e32 v4, vcc, 0, v4
	v_addc_co_u32_e32 v5, vcc, v5, v3, vcc
	v_cmp_le_i64_e32 vcc, s[34:35], v[0:1]
	global_store_dwordx2 v[8:9], v[6:7], off
	s_orn2_b64 s[2:3], vcc, exec
	s_branch .LBB0_2
.LBB0_28:
	s_or_b64 exec, exec, s[46:47]
	s_and_saveexec_b64 s[0:1], s[4:5]
	s_xor_b64 s[0:1], exec, s[0:1]
	s_cbranch_execnz .LBB0_30
.LBB0_29:
	s_endpgm
.LBB0_30:
	s_trap 2
	; divergent unreachable
	s_endpgm
	.section	.rodata,"a",@progbits
	.p2align	6, 0x0
	.amdhsa_kernel _ZN2at6native12_GLOBAL__N_135nll_loss2d_forward_no_reduce_kernelIdEEvlN5torch10headeronly6detail27GenericPackedTensorAccessorINS5_14TensorAccessorIN3c108ArrayRefIlEET_Lm3ENS4_16DefaultPtrTraitsElEENS_6detail16IndexBoundsCheckILm4ElEESB_Lm4ESC_lEENS6_INS7_ISA_lLm2ESC_lEENSF_ILm3ElEElLm3ESC_lEENS6_INS7_ISA_SB_Lm2ESC_lEESJ_SB_Lm3ESC_lEEPKSB_l
		.amdhsa_group_segment_fixed_size 0
		.amdhsa_private_segment_fixed_size 0
		.amdhsa_kernarg_size 464
		.amdhsa_user_sgpr_count 6
		.amdhsa_user_sgpr_private_segment_buffer 1
		.amdhsa_user_sgpr_dispatch_ptr 0
		.amdhsa_user_sgpr_queue_ptr 0
		.amdhsa_user_sgpr_kernarg_segment_ptr 1
		.amdhsa_user_sgpr_dispatch_id 0
		.amdhsa_user_sgpr_flat_scratch_init 0
		.amdhsa_user_sgpr_private_segment_size 0
		.amdhsa_uses_dynamic_stack 0
		.amdhsa_system_sgpr_private_segment_wavefront_offset 0
		.amdhsa_system_sgpr_workgroup_id_x 1
		.amdhsa_system_sgpr_workgroup_id_y 0
		.amdhsa_system_sgpr_workgroup_id_z 0
		.amdhsa_system_sgpr_workgroup_info 0
		.amdhsa_system_vgpr_workitem_id 0
		.amdhsa_next_free_vgpr 22
		.amdhsa_next_free_sgpr 68
		.amdhsa_reserve_vcc 1
		.amdhsa_reserve_flat_scratch 0
		.amdhsa_float_round_mode_32 0
		.amdhsa_float_round_mode_16_64 0
		.amdhsa_float_denorm_mode_32 3
		.amdhsa_float_denorm_mode_16_64 3
		.amdhsa_dx10_clamp 1
		.amdhsa_ieee_mode 1
		.amdhsa_fp16_overflow 0
		.amdhsa_exception_fp_ieee_invalid_op 0
		.amdhsa_exception_fp_denorm_src 0
		.amdhsa_exception_fp_ieee_div_zero 0
		.amdhsa_exception_fp_ieee_overflow 0
		.amdhsa_exception_fp_ieee_underflow 0
		.amdhsa_exception_fp_ieee_inexact 0
		.amdhsa_exception_int_div_zero 0
	.end_amdhsa_kernel
	.section	.text._ZN2at6native12_GLOBAL__N_135nll_loss2d_forward_no_reduce_kernelIdEEvlN5torch10headeronly6detail27GenericPackedTensorAccessorINS5_14TensorAccessorIN3c108ArrayRefIlEET_Lm3ENS4_16DefaultPtrTraitsElEENS_6detail16IndexBoundsCheckILm4ElEESB_Lm4ESC_lEENS6_INS7_ISA_lLm2ESC_lEENSF_ILm3ElEElLm3ESC_lEENS6_INS7_ISA_SB_Lm2ESC_lEESJ_SB_Lm3ESC_lEEPKSB_l,"axG",@progbits,_ZN2at6native12_GLOBAL__N_135nll_loss2d_forward_no_reduce_kernelIdEEvlN5torch10headeronly6detail27GenericPackedTensorAccessorINS5_14TensorAccessorIN3c108ArrayRefIlEET_Lm3ENS4_16DefaultPtrTraitsElEENS_6detail16IndexBoundsCheckILm4ElEESB_Lm4ESC_lEENS6_INS7_ISA_lLm2ESC_lEENSF_ILm3ElEElLm3ESC_lEENS6_INS7_ISA_SB_Lm2ESC_lEESJ_SB_Lm3ESC_lEEPKSB_l,comdat
.Lfunc_end0:
	.size	_ZN2at6native12_GLOBAL__N_135nll_loss2d_forward_no_reduce_kernelIdEEvlN5torch10headeronly6detail27GenericPackedTensorAccessorINS5_14TensorAccessorIN3c108ArrayRefIlEET_Lm3ENS4_16DefaultPtrTraitsElEENS_6detail16IndexBoundsCheckILm4ElEESB_Lm4ESC_lEENS6_INS7_ISA_lLm2ESC_lEENSF_ILm3ElEElLm3ESC_lEENS6_INS7_ISA_SB_Lm2ESC_lEESJ_SB_Lm3ESC_lEEPKSB_l, .Lfunc_end0-_ZN2at6native12_GLOBAL__N_135nll_loss2d_forward_no_reduce_kernelIdEEvlN5torch10headeronly6detail27GenericPackedTensorAccessorINS5_14TensorAccessorIN3c108ArrayRefIlEET_Lm3ENS4_16DefaultPtrTraitsElEENS_6detail16IndexBoundsCheckILm4ElEESB_Lm4ESC_lEENS6_INS7_ISA_lLm2ESC_lEENSF_ILm3ElEElLm3ESC_lEENS6_INS7_ISA_SB_Lm2ESC_lEESJ_SB_Lm3ESC_lEEPKSB_l
                                        ; -- End function
	.set _ZN2at6native12_GLOBAL__N_135nll_loss2d_forward_no_reduce_kernelIdEEvlN5torch10headeronly6detail27GenericPackedTensorAccessorINS5_14TensorAccessorIN3c108ArrayRefIlEET_Lm3ENS4_16DefaultPtrTraitsElEENS_6detail16IndexBoundsCheckILm4ElEESB_Lm4ESC_lEENS6_INS7_ISA_lLm2ESC_lEENSF_ILm3ElEElLm3ESC_lEENS6_INS7_ISA_SB_Lm2ESC_lEESJ_SB_Lm3ESC_lEEPKSB_l.num_vgpr, 22
	.set _ZN2at6native12_GLOBAL__N_135nll_loss2d_forward_no_reduce_kernelIdEEvlN5torch10headeronly6detail27GenericPackedTensorAccessorINS5_14TensorAccessorIN3c108ArrayRefIlEET_Lm3ENS4_16DefaultPtrTraitsElEENS_6detail16IndexBoundsCheckILm4ElEESB_Lm4ESC_lEENS6_INS7_ISA_lLm2ESC_lEENSF_ILm3ElEElLm3ESC_lEENS6_INS7_ISA_SB_Lm2ESC_lEESJ_SB_Lm3ESC_lEEPKSB_l.num_agpr, 0
	.set _ZN2at6native12_GLOBAL__N_135nll_loss2d_forward_no_reduce_kernelIdEEvlN5torch10headeronly6detail27GenericPackedTensorAccessorINS5_14TensorAccessorIN3c108ArrayRefIlEET_Lm3ENS4_16DefaultPtrTraitsElEENS_6detail16IndexBoundsCheckILm4ElEESB_Lm4ESC_lEENS6_INS7_ISA_lLm2ESC_lEENSF_ILm3ElEElLm3ESC_lEENS6_INS7_ISA_SB_Lm2ESC_lEESJ_SB_Lm3ESC_lEEPKSB_l.numbered_sgpr, 68
	.set _ZN2at6native12_GLOBAL__N_135nll_loss2d_forward_no_reduce_kernelIdEEvlN5torch10headeronly6detail27GenericPackedTensorAccessorINS5_14TensorAccessorIN3c108ArrayRefIlEET_Lm3ENS4_16DefaultPtrTraitsElEENS_6detail16IndexBoundsCheckILm4ElEESB_Lm4ESC_lEENS6_INS7_ISA_lLm2ESC_lEENSF_ILm3ElEElLm3ESC_lEENS6_INS7_ISA_SB_Lm2ESC_lEESJ_SB_Lm3ESC_lEEPKSB_l.num_named_barrier, 0
	.set _ZN2at6native12_GLOBAL__N_135nll_loss2d_forward_no_reduce_kernelIdEEvlN5torch10headeronly6detail27GenericPackedTensorAccessorINS5_14TensorAccessorIN3c108ArrayRefIlEET_Lm3ENS4_16DefaultPtrTraitsElEENS_6detail16IndexBoundsCheckILm4ElEESB_Lm4ESC_lEENS6_INS7_ISA_lLm2ESC_lEENSF_ILm3ElEElLm3ESC_lEENS6_INS7_ISA_SB_Lm2ESC_lEESJ_SB_Lm3ESC_lEEPKSB_l.private_seg_size, 0
	.set _ZN2at6native12_GLOBAL__N_135nll_loss2d_forward_no_reduce_kernelIdEEvlN5torch10headeronly6detail27GenericPackedTensorAccessorINS5_14TensorAccessorIN3c108ArrayRefIlEET_Lm3ENS4_16DefaultPtrTraitsElEENS_6detail16IndexBoundsCheckILm4ElEESB_Lm4ESC_lEENS6_INS7_ISA_lLm2ESC_lEENSF_ILm3ElEElLm3ESC_lEENS6_INS7_ISA_SB_Lm2ESC_lEESJ_SB_Lm3ESC_lEEPKSB_l.uses_vcc, 1
	.set _ZN2at6native12_GLOBAL__N_135nll_loss2d_forward_no_reduce_kernelIdEEvlN5torch10headeronly6detail27GenericPackedTensorAccessorINS5_14TensorAccessorIN3c108ArrayRefIlEET_Lm3ENS4_16DefaultPtrTraitsElEENS_6detail16IndexBoundsCheckILm4ElEESB_Lm4ESC_lEENS6_INS7_ISA_lLm2ESC_lEENSF_ILm3ElEElLm3ESC_lEENS6_INS7_ISA_SB_Lm2ESC_lEESJ_SB_Lm3ESC_lEEPKSB_l.uses_flat_scratch, 0
	.set _ZN2at6native12_GLOBAL__N_135nll_loss2d_forward_no_reduce_kernelIdEEvlN5torch10headeronly6detail27GenericPackedTensorAccessorINS5_14TensorAccessorIN3c108ArrayRefIlEET_Lm3ENS4_16DefaultPtrTraitsElEENS_6detail16IndexBoundsCheckILm4ElEESB_Lm4ESC_lEENS6_INS7_ISA_lLm2ESC_lEENSF_ILm3ElEElLm3ESC_lEENS6_INS7_ISA_SB_Lm2ESC_lEESJ_SB_Lm3ESC_lEEPKSB_l.has_dyn_sized_stack, 0
	.set _ZN2at6native12_GLOBAL__N_135nll_loss2d_forward_no_reduce_kernelIdEEvlN5torch10headeronly6detail27GenericPackedTensorAccessorINS5_14TensorAccessorIN3c108ArrayRefIlEET_Lm3ENS4_16DefaultPtrTraitsElEENS_6detail16IndexBoundsCheckILm4ElEESB_Lm4ESC_lEENS6_INS7_ISA_lLm2ESC_lEENSF_ILm3ElEElLm3ESC_lEENS6_INS7_ISA_SB_Lm2ESC_lEESJ_SB_Lm3ESC_lEEPKSB_l.has_recursion, 0
	.set _ZN2at6native12_GLOBAL__N_135nll_loss2d_forward_no_reduce_kernelIdEEvlN5torch10headeronly6detail27GenericPackedTensorAccessorINS5_14TensorAccessorIN3c108ArrayRefIlEET_Lm3ENS4_16DefaultPtrTraitsElEENS_6detail16IndexBoundsCheckILm4ElEESB_Lm4ESC_lEENS6_INS7_ISA_lLm2ESC_lEENSF_ILm3ElEElLm3ESC_lEENS6_INS7_ISA_SB_Lm2ESC_lEESJ_SB_Lm3ESC_lEEPKSB_l.has_indirect_call, 0
	.section	.AMDGPU.csdata,"",@progbits
; Kernel info:
; codeLenInByte = 3932
; TotalNumSgprs: 72
; NumVgprs: 22
; ScratchSize: 0
; MemoryBound: 0
; FloatMode: 240
; IeeeMode: 1
; LDSByteSize: 0 bytes/workgroup (compile time only)
; SGPRBlocks: 8
; VGPRBlocks: 5
; NumSGPRsForWavesPerEU: 72
; NumVGPRsForWavesPerEU: 22
; Occupancy: 10
; WaveLimiterHint : 1
; COMPUTE_PGM_RSRC2:SCRATCH_EN: 0
; COMPUTE_PGM_RSRC2:USER_SGPR: 6
; COMPUTE_PGM_RSRC2:TRAP_HANDLER: 0
; COMPUTE_PGM_RSRC2:TGID_X_EN: 1
; COMPUTE_PGM_RSRC2:TGID_Y_EN: 0
; COMPUTE_PGM_RSRC2:TGID_Z_EN: 0
; COMPUTE_PGM_RSRC2:TIDIG_COMP_CNT: 0
	.section	.text._ZN2at6native12_GLOBAL__N_135nll_loss2d_forward_no_reduce_kernelIfEEvlN5torch10headeronly6detail27GenericPackedTensorAccessorINS5_14TensorAccessorIN3c108ArrayRefIlEET_Lm3ENS4_16DefaultPtrTraitsElEENS_6detail16IndexBoundsCheckILm4ElEESB_Lm4ESC_lEENS6_INS7_ISA_lLm2ESC_lEENSF_ILm3ElEElLm3ESC_lEENS6_INS7_ISA_SB_Lm2ESC_lEESJ_SB_Lm3ESC_lEEPKSB_l,"axG",@progbits,_ZN2at6native12_GLOBAL__N_135nll_loss2d_forward_no_reduce_kernelIfEEvlN5torch10headeronly6detail27GenericPackedTensorAccessorINS5_14TensorAccessorIN3c108ArrayRefIlEET_Lm3ENS4_16DefaultPtrTraitsElEENS_6detail16IndexBoundsCheckILm4ElEESB_Lm4ESC_lEENS6_INS7_ISA_lLm2ESC_lEENSF_ILm3ElEElLm3ESC_lEENS6_INS7_ISA_SB_Lm2ESC_lEESJ_SB_Lm3ESC_lEEPKSB_l,comdat
	.globl	_ZN2at6native12_GLOBAL__N_135nll_loss2d_forward_no_reduce_kernelIfEEvlN5torch10headeronly6detail27GenericPackedTensorAccessorINS5_14TensorAccessorIN3c108ArrayRefIlEET_Lm3ENS4_16DefaultPtrTraitsElEENS_6detail16IndexBoundsCheckILm4ElEESB_Lm4ESC_lEENS6_INS7_ISA_lLm2ESC_lEENSF_ILm3ElEElLm3ESC_lEENS6_INS7_ISA_SB_Lm2ESC_lEESJ_SB_Lm3ESC_lEEPKSB_l ; -- Begin function _ZN2at6native12_GLOBAL__N_135nll_loss2d_forward_no_reduce_kernelIfEEvlN5torch10headeronly6detail27GenericPackedTensorAccessorINS5_14TensorAccessorIN3c108ArrayRefIlEET_Lm3ENS4_16DefaultPtrTraitsElEENS_6detail16IndexBoundsCheckILm4ElEESB_Lm4ESC_lEENS6_INS7_ISA_lLm2ESC_lEENSF_ILm3ElEElLm3ESC_lEENS6_INS7_ISA_SB_Lm2ESC_lEESJ_SB_Lm3ESC_lEEPKSB_l
	.p2align	8
	.type	_ZN2at6native12_GLOBAL__N_135nll_loss2d_forward_no_reduce_kernelIfEEvlN5torch10headeronly6detail27GenericPackedTensorAccessorINS5_14TensorAccessorIN3c108ArrayRefIlEET_Lm3ENS4_16DefaultPtrTraitsElEENS_6detail16IndexBoundsCheckILm4ElEESB_Lm4ESC_lEENS6_INS7_ISA_lLm2ESC_lEENSF_ILm3ElEElLm3ESC_lEENS6_INS7_ISA_SB_Lm2ESC_lEESJ_SB_Lm3ESC_lEEPKSB_l,@function
_ZN2at6native12_GLOBAL__N_135nll_loss2d_forward_no_reduce_kernelIfEEvlN5torch10headeronly6detail27GenericPackedTensorAccessorINS5_14TensorAccessorIN3c108ArrayRefIlEET_Lm3ENS4_16DefaultPtrTraitsElEENS_6detail16IndexBoundsCheckILm4ElEESB_Lm4ESC_lEENS6_INS7_ISA_lLm2ESC_lEENSF_ILm3ElEElLm3ESC_lEENS6_INS7_ISA_SB_Lm2ESC_lEESJ_SB_Lm3ESC_lEEPKSB_l: ; @_ZN2at6native12_GLOBAL__N_135nll_loss2d_forward_no_reduce_kernelIfEEvlN5torch10headeronly6detail27GenericPackedTensorAccessorINS5_14TensorAccessorIN3c108ArrayRefIlEET_Lm3ENS4_16DefaultPtrTraitsElEENS_6detail16IndexBoundsCheckILm4ElEESB_Lm4ESC_lEENS6_INS7_ISA_lLm2ESC_lEENSF_ILm3ElEElLm3ESC_lEENS6_INS7_ISA_SB_Lm2ESC_lEESJ_SB_Lm3ESC_lEEPKSB_l
; %bb.0:
	s_load_dword s2, s[4:5], 0xdc
	s_load_dwordx2 s[34:35], s[4:5], 0x0
	s_add_u32 s0, s4, 0xd0
	v_mov_b32_e32 v2, 0
	s_addc_u32 s1, s5, 0
	s_waitcnt lgkmcnt(0)
	s_and_b32 s2, s2, 0xffff
	v_mov_b32_e32 v1, v2
	v_mov_b32_e32 v3, s6
	v_mad_u64_u32 v[0:1], s[6:7], s2, v3, v[0:1]
	v_cmp_gt_i64_e32 vcc, s[34:35], v[0:1]
	s_and_saveexec_b64 s[6:7], vcc
	s_cbranch_execz .LBB1_29
; %bb.1:
	s_load_dwordx8 s[8:15], s[4:5], 0x10
	s_load_dwordx4 s[36:39], s[4:5], 0xc0
	s_load_dwordx2 s[6:7], s[4:5], 0x8
	s_load_dwordx8 s[16:23], s[4:5], 0x30
	s_load_dword s3, s[0:1], 0x0
	s_waitcnt lgkmcnt(0)
	s_mul_i32 s0, s12, s9
	s_mul_hi_u32 s1, s12, s8
	s_load_dwordx2 s[44:45], s[4:5], 0x50
	s_load_dwordx8 s[24:31], s[4:5], 0x70
	s_load_dwordx2 s[50:51], s[4:5], 0xb8
	s_load_dwordx4 s[40:43], s[4:5], 0xa8
	s_add_i32 s0, s1, s0
	s_mul_i32 s1, s13, s8
	s_add_i32 s33, s0, s1
	v_mov_b32_e32 v3, v0
	s_cmp_lg_u64 s[36:37], 0
	s_mul_i32 s59, s3, s2
	v_mov_b32_e32 v5, v3
	s_mul_i32 s58, s12, s8
	s_mov_b64 s[46:47], 0
	s_cselect_b64 s[48:49], -1, 0
	s_mov_b32 s60, s59
	v_mov_b32_e32 v4, v2
                                        ; implicit-def: $sgpr4_sgpr5
                                        ; implicit-def: $sgpr52_sgpr53
	s_branch .LBB1_3
.LBB1_2:                                ;   in Loop: Header=BB1_3 Depth=1
	s_or_b64 exec, exec, s[0:1]
	s_and_b64 s[0:1], exec, s[2:3]
	s_or_b64 s[46:47], s[0:1], s[46:47]
	s_andn2_b64 s[0:1], s[4:5], exec
	s_and_b64 s[2:3], s[52:53], exec
	s_or_b64 s[4:5], s[0:1], s[2:3]
	s_andn2_b64 exec, exec, s[46:47]
	s_cbranch_execz .LBB1_28
.LBB1_3:                                ; =>This Inner Loop Header: Depth=1
	v_ashrrev_i32_e32 v14, 31, v5
	v_or_b32_e32 v3, s9, v14
	v_cmp_ne_u64_e32 vcc, 0, v[2:3]
	v_mov_b32_e32 v15, v5
	v_ashrrev_i32_e32 v10, 31, v14
                                        ; implicit-def: $vgpr6_vgpr7
	s_and_saveexec_b64 s[0:1], vcc
	s_xor_b64 s[2:3], exec, s[0:1]
	s_cbranch_execz .LBB1_5
; %bb.4:                                ;   in Loop: Header=BB1_3 Depth=1
	s_ashr_i32 s54, s9, 31
	s_add_u32 s0, s8, s54
	s_mov_b32 s55, s54
	s_addc_u32 s1, s9, s54
	s_xor_b64 s[56:57], s[0:1], s[54:55]
	v_cvt_f32_u32_e32 v3, s56
	v_cvt_f32_u32_e32 v6, s57
	s_sub_u32 s55, 0, s56
	s_subb_u32 s61, 0, s57
	v_mac_f32_e32 v3, 0x4f800000, v6
	v_rcp_f32_e32 v3, v3
	v_mul_f32_e32 v3, 0x5f7ffffc, v3
	v_mul_f32_e32 v6, 0x2f800000, v3
	v_trunc_f32_e32 v6, v6
	v_mac_f32_e32 v3, 0xcf800000, v6
	v_cvt_u32_f32_e32 v6, v6
	v_cvt_u32_f32_e32 v3, v3
	v_readfirstlane_b32 s62, v6
	v_readfirstlane_b32 s0, v3
	s_mul_i32 s1, s55, s62
	s_mul_hi_u32 s64, s55, s0
	s_mul_i32 s63, s61, s0
	s_add_i32 s1, s64, s1
	s_add_i32 s1, s1, s63
	s_mul_i32 s65, s55, s0
	s_mul_i32 s64, s0, s1
	s_mul_hi_u32 s66, s0, s65
	s_mul_hi_u32 s63, s0, s1
	s_add_u32 s64, s66, s64
	s_addc_u32 s63, 0, s63
	s_mul_hi_u32 s67, s62, s65
	s_mul_i32 s65, s62, s65
	s_add_u32 s64, s64, s65
	s_mul_hi_u32 s66, s62, s1
	s_addc_u32 s63, s63, s67
	s_addc_u32 s64, s66, 0
	s_mul_i32 s1, s62, s1
	s_add_u32 s1, s63, s1
	s_addc_u32 s63, 0, s64
	s_add_u32 s64, s0, s1
	s_cselect_b64 s[0:1], -1, 0
	s_cmp_lg_u64 s[0:1], 0
	s_addc_u32 s62, s62, s63
	s_mul_i32 s0, s55, s62
	s_mul_hi_u32 s1, s55, s64
	s_add_i32 s0, s1, s0
	s_mul_i32 s61, s61, s64
	s_add_i32 s0, s0, s61
	s_mul_i32 s55, s55, s64
	s_mul_hi_u32 s61, s62, s55
	s_mul_i32 s63, s62, s55
	s_mul_i32 s66, s64, s0
	s_mul_hi_u32 s55, s64, s55
	s_mul_hi_u32 s65, s64, s0
	s_add_u32 s55, s55, s66
	s_addc_u32 s65, 0, s65
	s_add_u32 s55, s55, s63
	s_mul_hi_u32 s1, s62, s0
	s_addc_u32 s55, s65, s61
	s_addc_u32 s1, s1, 0
	s_mul_i32 s0, s62, s0
	s_add_u32 s0, s55, s0
	s_addc_u32 s55, 0, s1
	s_add_u32 s61, s64, s0
	s_cselect_b64 s[0:1], -1, 0
	s_cmp_lg_u64 s[0:1], 0
	v_add_co_u32_e32 v3, vcc, v15, v10
	s_addc_u32 s55, s62, s55
	v_xor_b32_e32 v3, v3, v10
	v_mad_u64_u32 v[6:7], s[0:1], v3, s55, 0
	v_mul_hi_u32 v9, v3, s61
	v_addc_co_u32_e32 v8, vcc, v14, v10, vcc
	v_xor_b32_e32 v11, v8, v10
	v_add_co_u32_e32 v12, vcc, v9, v6
	v_addc_co_u32_e32 v13, vcc, 0, v7, vcc
	v_mad_u64_u32 v[6:7], s[0:1], v11, s61, 0
	v_mad_u64_u32 v[8:9], s[0:1], v11, s55, 0
	v_add_co_u32_e32 v6, vcc, v12, v6
	v_addc_co_u32_e32 v6, vcc, v13, v7, vcc
	v_addc_co_u32_e32 v7, vcc, 0, v9, vcc
	v_add_co_u32_e32 v8, vcc, v6, v8
	v_addc_co_u32_e32 v9, vcc, 0, v7, vcc
	v_mul_lo_u32 v12, s57, v8
	v_mul_lo_u32 v13, s56, v9
	v_mad_u64_u32 v[6:7], s[0:1], s56, v8, 0
	v_add3_u32 v7, v7, v13, v12
	v_sub_u32_e32 v12, v11, v7
	v_mov_b32_e32 v13, s57
	v_sub_co_u32_e32 v3, vcc, v3, v6
	v_subb_co_u32_e64 v6, s[0:1], v12, v13, vcc
	v_subrev_co_u32_e64 v12, s[0:1], s56, v3
	v_subbrev_co_u32_e64 v6, s[0:1], 0, v6, s[0:1]
	v_cmp_le_u32_e64 s[0:1], s57, v6
	v_cndmask_b32_e64 v13, 0, -1, s[0:1]
	v_cmp_le_u32_e64 s[0:1], s56, v12
	v_cndmask_b32_e64 v12, 0, -1, s[0:1]
	v_cmp_eq_u32_e64 s[0:1], s57, v6
	v_cndmask_b32_e64 v6, v13, v12, s[0:1]
	v_add_co_u32_e64 v12, s[0:1], 2, v8
	v_subb_co_u32_e32 v7, vcc, v11, v7, vcc
	v_addc_co_u32_e64 v13, s[0:1], 0, v9, s[0:1]
	v_cmp_le_u32_e32 vcc, s57, v7
	v_add_co_u32_e64 v16, s[0:1], 1, v8
	v_cndmask_b32_e64 v11, 0, -1, vcc
	v_cmp_le_u32_e32 vcc, s56, v3
	v_addc_co_u32_e64 v17, s[0:1], 0, v9, s[0:1]
	v_cndmask_b32_e64 v3, 0, -1, vcc
	v_cmp_eq_u32_e32 vcc, s57, v7
	v_cmp_ne_u32_e64 s[0:1], 0, v6
	v_cndmask_b32_e32 v3, v11, v3, vcc
	v_cndmask_b32_e64 v6, v17, v13, s[0:1]
	v_cmp_ne_u32_e32 vcc, 0, v3
	v_cndmask_b32_e32 v3, v9, v6, vcc
	v_cndmask_b32_e64 v6, v16, v12, s[0:1]
	v_cndmask_b32_e32 v6, v8, v6, vcc
	v_xor_b32_e32 v7, s54, v10
	v_xor_b32_e32 v6, v6, v7
	;; [unrolled: 1-line block ×3, first 2 shown]
	v_sub_co_u32_e32 v6, vcc, v6, v7
	v_subb_co_u32_e32 v7, vcc, v3, v7, vcc
.LBB1_5:                                ;   in Loop: Header=BB1_3 Depth=1
	s_andn2_saveexec_b64 s[0:1], s[2:3]
	s_cbranch_execz .LBB1_7
; %bb.6:                                ;   in Loop: Header=BB1_3 Depth=1
	v_cvt_f32_u32_e32 v3, s8
	s_sub_i32 s2, 0, s8
	v_rcp_iflag_f32_e32 v3, v3
	v_mul_f32_e32 v3, 0x4f7ffffe, v3
	v_cvt_u32_f32_e32 v3, v3
	v_mul_lo_u32 v6, s2, v3
	v_mul_hi_u32 v6, v3, v6
	v_add_u32_e32 v3, v3, v6
	v_mul_hi_u32 v3, v15, v3
	v_mul_lo_u32 v6, v3, s8
	v_add_u32_e32 v7, 1, v3
	v_sub_u32_e32 v6, v15, v6
	v_subrev_u32_e32 v8, s8, v6
	v_cmp_le_u32_e32 vcc, s8, v6
	v_cndmask_b32_e32 v6, v6, v8, vcc
	v_cndmask_b32_e32 v3, v3, v7, vcc
	v_add_u32_e32 v7, 1, v3
	v_cmp_le_u32_e32 vcc, s8, v6
	v_cndmask_b32_e32 v6, v3, v7, vcc
	v_mov_b32_e32 v7, v2
.LBB1_7:                                ;   in Loop: Header=BB1_3 Depth=1
	s_or_b64 exec, exec, s[0:1]
	v_or_b32_e32 v3, s13, v7
	v_cmp_ne_u64_e32 vcc, 0, v[2:3]
                                        ; implicit-def: $vgpr8_vgpr9
	s_and_saveexec_b64 s[0:1], vcc
	s_xor_b64 s[54:55], exec, s[0:1]
	s_cbranch_execz .LBB1_9
; %bb.8:                                ;   in Loop: Header=BB1_3 Depth=1
	s_ashr_i32 s0, s13, 31
	s_add_u32 s2, s12, s0
	s_mov_b32 s1, s0
	s_addc_u32 s3, s13, s0
	s_xor_b64 s[56:57], s[2:3], s[0:1]
	v_cvt_f32_u32_e32 v3, s56
	v_cvt_f32_u32_e32 v8, s57
	s_sub_u32 s2, 0, s56
	s_subb_u32 s3, 0, s57
	v_mac_f32_e32 v3, 0x4f800000, v8
	v_rcp_f32_e32 v3, v3
	v_mul_f32_e32 v3, 0x5f7ffffc, v3
	v_mul_f32_e32 v8, 0x2f800000, v3
	v_trunc_f32_e32 v8, v8
	v_mac_f32_e32 v3, 0xcf800000, v8
	v_cvt_u32_f32_e32 v8, v8
	v_cvt_u32_f32_e32 v3, v3
	v_readfirstlane_b32 s61, v8
	v_readfirstlane_b32 s0, v3
	s_mul_i32 s1, s2, s61
	s_mul_hi_u32 s63, s2, s0
	s_mul_i32 s62, s3, s0
	s_add_i32 s1, s63, s1
	s_add_i32 s1, s1, s62
	s_mul_i32 s64, s2, s0
	s_mul_i32 s63, s0, s1
	s_mul_hi_u32 s65, s0, s64
	s_mul_hi_u32 s62, s0, s1
	s_add_u32 s63, s65, s63
	s_addc_u32 s62, 0, s62
	s_mul_hi_u32 s66, s61, s64
	s_mul_i32 s64, s61, s64
	s_add_u32 s63, s63, s64
	s_mul_hi_u32 s65, s61, s1
	s_addc_u32 s62, s62, s66
	s_addc_u32 s63, s65, 0
	s_mul_i32 s1, s61, s1
	s_add_u32 s1, s62, s1
	s_addc_u32 s62, 0, s63
	s_add_u32 s63, s0, s1
	s_cselect_b64 s[0:1], -1, 0
	s_cmp_lg_u64 s[0:1], 0
	s_addc_u32 s61, s61, s62
	s_mul_i32 s0, s2, s61
	s_mul_hi_u32 s1, s2, s63
	s_add_i32 s0, s1, s0
	s_mul_i32 s3, s3, s63
	s_add_i32 s0, s0, s3
	s_mul_i32 s2, s2, s63
	s_mul_hi_u32 s3, s61, s2
	s_mul_i32 s62, s61, s2
	s_mul_i32 s65, s63, s0
	s_mul_hi_u32 s2, s63, s2
	s_mul_hi_u32 s64, s63, s0
	s_add_u32 s2, s2, s65
	s_addc_u32 s64, 0, s64
	s_add_u32 s2, s2, s62
	s_mul_hi_u32 s1, s61, s0
	s_addc_u32 s2, s64, s3
	s_addc_u32 s1, s1, 0
	s_mul_i32 s0, s61, s0
	s_add_u32 s0, s2, s0
	s_addc_u32 s2, 0, s1
	s_add_u32 s3, s63, s0
	s_cselect_b64 s[0:1], -1, 0
	v_ashrrev_i32_e32 v3, 31, v7
	s_cmp_lg_u64 s[0:1], 0
	v_add_co_u32_e32 v8, vcc, v6, v3
	s_addc_u32 s2, s61, s2
	v_xor_b32_e32 v13, v8, v3
	v_mad_u64_u32 v[8:9], s[0:1], v13, s2, 0
	v_mul_hi_u32 v12, v13, s3
	v_addc_co_u32_e32 v11, vcc, v7, v3, vcc
	v_xor_b32_e32 v16, v11, v3
	v_add_co_u32_e32 v17, vcc, v12, v8
	v_addc_co_u32_e32 v18, vcc, 0, v9, vcc
	v_mad_u64_u32 v[8:9], s[0:1], v16, s3, 0
	v_mad_u64_u32 v[11:12], s[0:1], v16, s2, 0
	v_add_co_u32_e32 v8, vcc, v17, v8
	v_addc_co_u32_e32 v8, vcc, v18, v9, vcc
	v_addc_co_u32_e32 v9, vcc, 0, v12, vcc
	v_add_co_u32_e32 v8, vcc, v8, v11
	v_addc_co_u32_e32 v9, vcc, 0, v9, vcc
	v_mul_lo_u32 v11, s57, v8
	v_mul_lo_u32 v12, s56, v9
	v_mad_u64_u32 v[8:9], s[0:1], s56, v8, 0
	v_add3_u32 v9, v9, v12, v11
	v_sub_u32_e32 v11, v16, v9
	v_mov_b32_e32 v12, s57
	v_sub_co_u32_e32 v8, vcc, v13, v8
	v_subb_co_u32_e64 v11, s[0:1], v11, v12, vcc
	v_subrev_co_u32_e64 v13, s[0:1], s56, v8
	v_subbrev_co_u32_e64 v17, s[2:3], 0, v11, s[0:1]
	v_cmp_le_u32_e64 s[2:3], s57, v17
	v_cndmask_b32_e64 v18, 0, -1, s[2:3]
	v_cmp_le_u32_e64 s[2:3], s56, v13
	v_subb_co_u32_e64 v11, s[0:1], v11, v12, s[0:1]
	v_cndmask_b32_e64 v19, 0, -1, s[2:3]
	v_cmp_eq_u32_e64 s[2:3], s57, v17
	v_subrev_co_u32_e64 v12, s[0:1], s56, v13
	v_subb_co_u32_e32 v9, vcc, v16, v9, vcc
	v_cndmask_b32_e64 v18, v18, v19, s[2:3]
	v_subbrev_co_u32_e64 v11, s[0:1], 0, v11, s[0:1]
	v_cmp_le_u32_e32 vcc, s57, v9
	v_cmp_ne_u32_e64 s[0:1], 0, v18
	v_cndmask_b32_e64 v16, 0, -1, vcc
	v_cmp_le_u32_e32 vcc, s56, v8
	v_cndmask_b32_e64 v11, v17, v11, s[0:1]
	v_cndmask_b32_e64 v17, 0, -1, vcc
	v_cmp_eq_u32_e32 vcc, s57, v9
	v_cndmask_b32_e32 v16, v16, v17, vcc
	v_cmp_ne_u32_e32 vcc, 0, v16
	v_cndmask_b32_e32 v9, v9, v11, vcc
	v_cndmask_b32_e64 v11, v13, v12, s[0:1]
	v_cndmask_b32_e32 v8, v8, v11, vcc
	v_xor_b32_e32 v8, v8, v3
	v_xor_b32_e32 v9, v9, v3
	v_sub_co_u32_e32 v8, vcc, v8, v3
	v_subb_co_u32_e32 v9, vcc, v9, v3, vcc
.LBB1_9:                                ;   in Loop: Header=BB1_3 Depth=1
	s_andn2_saveexec_b64 s[0:1], s[54:55]
	s_cbranch_execz .LBB1_11
; %bb.10:                               ;   in Loop: Header=BB1_3 Depth=1
	v_cvt_f32_u32_e32 v3, s12
	s_sub_i32 s2, 0, s12
	v_mov_b32_e32 v9, v2
	v_rcp_iflag_f32_e32 v3, v3
	v_mul_f32_e32 v3, 0x4f7ffffe, v3
	v_cvt_u32_f32_e32 v3, v3
	v_mul_lo_u32 v8, s2, v3
	v_mul_hi_u32 v8, v3, v8
	v_add_u32_e32 v3, v3, v8
	v_mul_hi_u32 v3, v6, v3
	v_mul_lo_u32 v3, v3, s12
	v_sub_u32_e32 v3, v6, v3
	v_subrev_u32_e32 v8, s12, v3
	v_cmp_le_u32_e32 vcc, s12, v3
	v_cndmask_b32_e32 v3, v3, v8, vcc
	v_subrev_u32_e32 v8, s12, v3
	v_cmp_le_u32_e32 vcc, s12, v3
	v_cndmask_b32_e32 v8, v3, v8, vcc
.LBB1_11:                               ;   in Loop: Header=BB1_3 Depth=1
	s_or_b64 exec, exec, s[0:1]
	v_or_b32_e32 v3, s33, v14
	v_cmp_ne_u64_e32 vcc, 0, v[2:3]
                                        ; implicit-def: $vgpr12_vgpr13
	s_and_saveexec_b64 s[0:1], vcc
	s_xor_b64 s[2:3], exec, s[0:1]
	s_cbranch_execz .LBB1_13
; %bb.12:                               ;   in Loop: Header=BB1_3 Depth=1
	s_ashr_i32 s54, s33, 31
	s_add_u32 s0, s58, s54
	s_mov_b32 s55, s54
	s_addc_u32 s1, s33, s54
	s_xor_b64 s[56:57], s[0:1], s[54:55]
	v_cvt_f32_u32_e32 v3, s56
	v_cvt_f32_u32_e32 v11, s57
	s_sub_u32 s55, 0, s56
	s_subb_u32 s61, 0, s57
	v_mac_f32_e32 v3, 0x4f800000, v11
	v_rcp_f32_e32 v3, v3
	v_mul_f32_e32 v3, 0x5f7ffffc, v3
	v_mul_f32_e32 v11, 0x2f800000, v3
	v_trunc_f32_e32 v11, v11
	v_mac_f32_e32 v3, 0xcf800000, v11
	v_cvt_u32_f32_e32 v11, v11
	v_cvt_u32_f32_e32 v3, v3
	v_readfirstlane_b32 s62, v11
	v_readfirstlane_b32 s0, v3
	s_mul_i32 s1, s55, s62
	s_mul_hi_u32 s64, s55, s0
	s_mul_i32 s63, s61, s0
	s_add_i32 s1, s64, s1
	s_add_i32 s1, s1, s63
	s_mul_i32 s65, s55, s0
	s_mul_i32 s64, s0, s1
	s_mul_hi_u32 s66, s0, s65
	s_mul_hi_u32 s63, s0, s1
	s_add_u32 s64, s66, s64
	s_addc_u32 s63, 0, s63
	s_mul_hi_u32 s67, s62, s65
	s_mul_i32 s65, s62, s65
	s_add_u32 s64, s64, s65
	s_mul_hi_u32 s66, s62, s1
	s_addc_u32 s63, s63, s67
	s_addc_u32 s64, s66, 0
	s_mul_i32 s1, s62, s1
	s_add_u32 s1, s63, s1
	s_addc_u32 s63, 0, s64
	s_add_u32 s64, s0, s1
	s_cselect_b64 s[0:1], -1, 0
	s_cmp_lg_u64 s[0:1], 0
	s_addc_u32 s62, s62, s63
	s_mul_i32 s0, s55, s62
	s_mul_hi_u32 s1, s55, s64
	s_add_i32 s0, s1, s0
	s_mul_i32 s61, s61, s64
	s_add_i32 s0, s0, s61
	s_mul_i32 s55, s55, s64
	s_mul_hi_u32 s61, s62, s55
	s_mul_i32 s63, s62, s55
	s_mul_i32 s66, s64, s0
	s_mul_hi_u32 s55, s64, s55
	s_mul_hi_u32 s65, s64, s0
	s_add_u32 s55, s55, s66
	s_addc_u32 s65, 0, s65
	s_add_u32 s55, s55, s63
	s_mul_hi_u32 s1, s62, s0
	s_addc_u32 s55, s65, s61
	s_addc_u32 s1, s1, 0
	s_mul_i32 s0, s62, s0
	s_add_u32 s0, s55, s0
	s_addc_u32 s55, 0, s1
	s_add_u32 s61, s64, s0
	s_cselect_b64 s[0:1], -1, 0
	s_cmp_lg_u64 s[0:1], 0
	v_add_co_u32_e32 v3, vcc, v15, v10
	s_addc_u32 s55, s62, s55
	v_xor_b32_e32 v3, v3, v10
	v_mad_u64_u32 v[11:12], s[0:1], v3, s55, 0
	v_mul_hi_u32 v16, v3, s61
	v_addc_co_u32_e32 v13, vcc, v14, v10, vcc
	v_xor_b32_e32 v13, v13, v10
	v_add_co_u32_e32 v18, vcc, v16, v11
	v_addc_co_u32_e32 v19, vcc, 0, v12, vcc
	v_mad_u64_u32 v[11:12], s[0:1], v13, s61, 0
	v_mad_u64_u32 v[16:17], s[0:1], v13, s55, 0
	v_add_co_u32_e32 v11, vcc, v18, v11
	v_addc_co_u32_e32 v11, vcc, v19, v12, vcc
	v_addc_co_u32_e32 v12, vcc, 0, v17, vcc
	v_add_co_u32_e32 v16, vcc, v11, v16
	v_addc_co_u32_e32 v17, vcc, 0, v12, vcc
	v_mul_lo_u32 v18, s57, v16
	v_mul_lo_u32 v19, s56, v17
	v_mad_u64_u32 v[11:12], s[0:1], s56, v16, 0
	v_xor_b32_e32 v10, s54, v10
	v_add3_u32 v12, v12, v19, v18
	v_sub_u32_e32 v18, v13, v12
	v_mov_b32_e32 v19, s57
	v_sub_co_u32_e32 v3, vcc, v3, v11
	v_subb_co_u32_e64 v11, s[0:1], v18, v19, vcc
	v_subrev_co_u32_e64 v18, s[0:1], s56, v3
	v_subbrev_co_u32_e64 v11, s[0:1], 0, v11, s[0:1]
	v_cmp_le_u32_e64 s[0:1], s57, v11
	v_cndmask_b32_e64 v19, 0, -1, s[0:1]
	v_cmp_le_u32_e64 s[0:1], s56, v18
	v_cndmask_b32_e64 v18, 0, -1, s[0:1]
	v_cmp_eq_u32_e64 s[0:1], s57, v11
	v_cndmask_b32_e64 v11, v19, v18, s[0:1]
	v_add_co_u32_e64 v18, s[0:1], 2, v16
	v_subb_co_u32_e32 v12, vcc, v13, v12, vcc
	v_addc_co_u32_e64 v19, s[0:1], 0, v17, s[0:1]
	v_cmp_le_u32_e32 vcc, s57, v12
	v_add_co_u32_e64 v20, s[0:1], 1, v16
	v_cndmask_b32_e64 v13, 0, -1, vcc
	v_cmp_le_u32_e32 vcc, s56, v3
	v_addc_co_u32_e64 v21, s[0:1], 0, v17, s[0:1]
	v_cndmask_b32_e64 v3, 0, -1, vcc
	v_cmp_eq_u32_e32 vcc, s57, v12
	v_cmp_ne_u32_e64 s[0:1], 0, v11
	v_cndmask_b32_e32 v3, v13, v3, vcc
	v_cndmask_b32_e64 v11, v21, v19, s[0:1]
	v_cmp_ne_u32_e32 vcc, 0, v3
	v_cndmask_b32_e32 v3, v17, v11, vcc
	v_cndmask_b32_e64 v11, v20, v18, s[0:1]
	v_cndmask_b32_e32 v11, v16, v11, vcc
	v_xor_b32_e32 v11, v11, v10
	v_xor_b32_e32 v3, v3, v10
	v_sub_co_u32_e32 v12, vcc, v11, v10
	v_subb_co_u32_e32 v13, vcc, v3, v10, vcc
.LBB1_13:                               ;   in Loop: Header=BB1_3 Depth=1
	s_andn2_saveexec_b64 s[0:1], s[2:3]
	s_cbranch_execz .LBB1_15
; %bb.14:                               ;   in Loop: Header=BB1_3 Depth=1
	v_cvt_f32_u32_e32 v3, s58
	s_sub_i32 s2, 0, s58
	v_mov_b32_e32 v13, v2
	v_rcp_iflag_f32_e32 v3, v3
	v_mul_f32_e32 v3, 0x4f7ffffe, v3
	v_cvt_u32_f32_e32 v3, v3
	v_mul_lo_u32 v10, s2, v3
	v_mul_hi_u32 v10, v3, v10
	v_add_u32_e32 v3, v3, v10
	v_mul_hi_u32 v3, v5, v3
	v_mul_lo_u32 v10, v3, s58
	v_add_u32_e32 v11, 1, v3
	v_sub_u32_e32 v10, v5, v10
	v_subrev_u32_e32 v12, s58, v10
	v_cmp_le_u32_e32 vcc, s58, v10
	v_cndmask_b32_e32 v10, v10, v12, vcc
	v_cndmask_b32_e32 v3, v3, v11, vcc
	v_add_u32_e32 v11, 1, v3
	v_cmp_le_u32_e32 vcc, s58, v10
	v_cndmask_b32_e32 v12, v3, v11, vcc
.LBB1_15:                               ;   in Loop: Header=BB1_3 Depth=1
	s_or_b64 exec, exec, s[0:1]
	v_or_b32_e32 v3, s15, v13
	v_cmp_ne_u64_e32 vcc, 0, v[2:3]
                                        ; implicit-def: $vgpr10_vgpr11
	s_and_saveexec_b64 s[0:1], vcc
	s_xor_b64 s[54:55], exec, s[0:1]
	s_cbranch_execz .LBB1_17
; %bb.16:                               ;   in Loop: Header=BB1_3 Depth=1
	s_ashr_i32 s0, s15, 31
	s_add_u32 s2, s14, s0
	s_mov_b32 s1, s0
	s_addc_u32 s3, s15, s0
	s_xor_b64 s[56:57], s[2:3], s[0:1]
	v_cvt_f32_u32_e32 v3, s56
	v_cvt_f32_u32_e32 v10, s57
	s_sub_u32 s2, 0, s56
	s_subb_u32 s3, 0, s57
	v_mac_f32_e32 v3, 0x4f800000, v10
	v_rcp_f32_e32 v3, v3
	v_mul_f32_e32 v3, 0x5f7ffffc, v3
	v_mul_f32_e32 v10, 0x2f800000, v3
	v_trunc_f32_e32 v10, v10
	v_mac_f32_e32 v3, 0xcf800000, v10
	v_cvt_u32_f32_e32 v10, v10
	v_cvt_u32_f32_e32 v3, v3
	v_readfirstlane_b32 s61, v10
	v_readfirstlane_b32 s0, v3
	s_mul_i32 s1, s2, s61
	s_mul_hi_u32 s63, s2, s0
	s_mul_i32 s62, s3, s0
	s_add_i32 s1, s63, s1
	s_add_i32 s1, s1, s62
	s_mul_i32 s64, s2, s0
	s_mul_i32 s63, s0, s1
	s_mul_hi_u32 s65, s0, s64
	s_mul_hi_u32 s62, s0, s1
	s_add_u32 s63, s65, s63
	s_addc_u32 s62, 0, s62
	s_mul_hi_u32 s66, s61, s64
	s_mul_i32 s64, s61, s64
	s_add_u32 s63, s63, s64
	s_mul_hi_u32 s65, s61, s1
	s_addc_u32 s62, s62, s66
	s_addc_u32 s63, s65, 0
	s_mul_i32 s1, s61, s1
	s_add_u32 s1, s62, s1
	s_addc_u32 s62, 0, s63
	s_add_u32 s63, s0, s1
	s_cselect_b64 s[0:1], -1, 0
	s_cmp_lg_u64 s[0:1], 0
	s_addc_u32 s61, s61, s62
	s_mul_i32 s0, s2, s61
	s_mul_hi_u32 s1, s2, s63
	s_add_i32 s0, s1, s0
	s_mul_i32 s3, s3, s63
	s_add_i32 s0, s0, s3
	s_mul_i32 s2, s2, s63
	s_mul_hi_u32 s3, s61, s2
	s_mul_i32 s62, s61, s2
	s_mul_i32 s65, s63, s0
	s_mul_hi_u32 s2, s63, s2
	s_mul_hi_u32 s64, s63, s0
	s_add_u32 s2, s2, s65
	s_addc_u32 s64, 0, s64
	s_add_u32 s2, s2, s62
	s_mul_hi_u32 s1, s61, s0
	s_addc_u32 s2, s64, s3
	s_addc_u32 s1, s1, 0
	s_mul_i32 s0, s61, s0
	s_add_u32 s0, s2, s0
	s_addc_u32 s2, 0, s1
	s_add_u32 s3, s63, s0
	s_cselect_b64 s[0:1], -1, 0
	v_ashrrev_i32_e32 v3, 31, v13
	s_cmp_lg_u64 s[0:1], 0
	v_add_co_u32_e32 v10, vcc, v12, v3
	s_addc_u32 s2, s61, s2
	v_xor_b32_e32 v16, v10, v3
	v_addc_co_u32_e32 v12, vcc, v13, v3, vcc
	v_mad_u64_u32 v[10:11], s[0:1], v16, s2, 0
	v_mul_hi_u32 v13, v16, s3
	v_xor_b32_e32 v17, v12, v3
	v_add_co_u32_e32 v18, vcc, v13, v10
	v_addc_co_u32_e32 v19, vcc, 0, v11, vcc
	v_mad_u64_u32 v[10:11], s[0:1], v17, s3, 0
	v_mad_u64_u32 v[12:13], s[0:1], v17, s2, 0
	v_add_co_u32_e32 v10, vcc, v18, v10
	v_addc_co_u32_e32 v10, vcc, v19, v11, vcc
	v_addc_co_u32_e32 v11, vcc, 0, v13, vcc
	v_add_co_u32_e32 v10, vcc, v10, v12
	v_addc_co_u32_e32 v11, vcc, 0, v11, vcc
	v_mul_lo_u32 v12, s57, v10
	v_mul_lo_u32 v13, s56, v11
	v_mad_u64_u32 v[10:11], s[0:1], s56, v10, 0
	v_add3_u32 v11, v11, v13, v12
	v_sub_u32_e32 v12, v17, v11
	v_mov_b32_e32 v13, s57
	v_sub_co_u32_e32 v10, vcc, v16, v10
	v_subb_co_u32_e64 v12, s[0:1], v12, v13, vcc
	v_subrev_co_u32_e64 v16, s[0:1], s56, v10
	v_subbrev_co_u32_e64 v18, s[2:3], 0, v12, s[0:1]
	v_cmp_le_u32_e64 s[2:3], s57, v18
	v_cndmask_b32_e64 v19, 0, -1, s[2:3]
	v_cmp_le_u32_e64 s[2:3], s56, v16
	v_subb_co_u32_e64 v12, s[0:1], v12, v13, s[0:1]
	v_cndmask_b32_e64 v20, 0, -1, s[2:3]
	v_cmp_eq_u32_e64 s[2:3], s57, v18
	v_subrev_co_u32_e64 v13, s[0:1], s56, v16
	v_subb_co_u32_e32 v11, vcc, v17, v11, vcc
	v_cndmask_b32_e64 v19, v19, v20, s[2:3]
	v_subbrev_co_u32_e64 v12, s[0:1], 0, v12, s[0:1]
	v_cmp_le_u32_e32 vcc, s57, v11
	v_cmp_ne_u32_e64 s[0:1], 0, v19
	v_cndmask_b32_e64 v17, 0, -1, vcc
	v_cmp_le_u32_e32 vcc, s56, v10
	v_cndmask_b32_e64 v12, v18, v12, s[0:1]
	v_cndmask_b32_e64 v18, 0, -1, vcc
	v_cmp_eq_u32_e32 vcc, s57, v11
	v_cndmask_b32_e32 v17, v17, v18, vcc
	v_cmp_ne_u32_e32 vcc, 0, v17
	v_cndmask_b32_e32 v11, v11, v12, vcc
	v_cndmask_b32_e64 v12, v16, v13, s[0:1]
	v_cndmask_b32_e32 v10, v10, v12, vcc
	v_xor_b32_e32 v10, v10, v3
	v_xor_b32_e32 v11, v11, v3
	v_sub_co_u32_e32 v10, vcc, v10, v3
	v_subb_co_u32_e32 v11, vcc, v11, v3, vcc
                                        ; implicit-def: $vgpr12_vgpr13
.LBB1_17:                               ;   in Loop: Header=BB1_3 Depth=1
	s_andn2_saveexec_b64 s[0:1], s[54:55]
	s_cbranch_execz .LBB1_19
; %bb.18:                               ;   in Loop: Header=BB1_3 Depth=1
	v_cvt_f32_u32_e32 v3, s14
	s_sub_i32 s2, 0, s14
	v_mov_b32_e32 v11, v2
	v_rcp_iflag_f32_e32 v3, v3
	v_mul_f32_e32 v3, 0x4f7ffffe, v3
	v_cvt_u32_f32_e32 v3, v3
	v_mul_lo_u32 v10, s2, v3
	v_mul_hi_u32 v10, v3, v10
	v_add_u32_e32 v3, v3, v10
	v_mul_hi_u32 v3, v12, v3
	v_mul_lo_u32 v3, v3, s14
	v_sub_u32_e32 v3, v12, v3
	v_subrev_u32_e32 v10, s14, v3
	v_cmp_le_u32_e32 vcc, s14, v3
	v_cndmask_b32_e32 v3, v3, v10, vcc
	v_subrev_u32_e32 v10, s14, v3
	v_cmp_le_u32_e32 vcc, s14, v3
	v_cndmask_b32_e32 v10, v3, v10, vcc
.LBB1_19:                               ;   in Loop: Header=BB1_3 Depth=1
	s_or_b64 exec, exec, s[0:1]
	v_mul_lo_u32 v3, v7, s8
	v_mul_lo_u32 v12, v6, s9
	v_mad_u64_u32 v[6:7], s[0:1], v6, s8, 0
	s_waitcnt lgkmcnt(0)
	v_mul_lo_u32 v16, s27, v8
	v_mul_lo_u32 v17, s26, v9
	v_add3_u32 v7, v7, v12, v3
	v_sub_co_u32_e32 v3, vcc, v15, v6
	v_subb_co_u32_e32 v12, vcc, v14, v7, vcc
	v_mul_lo_u32 v13, s25, v3
	v_mul_lo_u32 v14, s24, v12
	v_mad_u64_u32 v[6:7], s[0:1], s24, v3, 0
	v_mov_b32_e32 v15, s45
	s_mov_b64 s[2:3], -1
	v_add3_u32 v7, v7, v14, v13
	v_mad_u64_u32 v[13:14], s[0:1], s26, v8, 0
	v_lshlrev_b64 v[6:7], 3, v[6:7]
	s_mov_b64 s[56:57], -1
	v_add_co_u32_e32 v18, vcc, s44, v6
	v_add3_u32 v14, v14, v17, v16
	v_addc_co_u32_e32 v15, vcc, v15, v7, vcc
	v_lshlrev_b64 v[6:7], 3, v[13:14]
	v_mul_lo_u32 v16, s29, v10
	v_mul_lo_u32 v17, s28, v11
	v_mad_u64_u32 v[13:14], s[0:1], s28, v10, 0
	v_add_co_u32_e32 v18, vcc, v18, v6
	v_add3_u32 v14, v14, v17, v16
	v_addc_co_u32_e32 v15, vcc, v15, v7, vcc
	v_lshlrev_b64 v[6:7], 3, v[13:14]
	v_mov_b32_e32 v13, 0
	v_add_co_u32_e32 v6, vcc, v18, v6
	v_addc_co_u32_e32 v7, vcc, v15, v7, vcc
	global_load_dwordx2 v[6:7], v[6:7], off
	s_waitcnt vmcnt(0)
	v_cmp_ne_u64_e32 vcc, s[38:39], v[6:7]
	s_and_saveexec_b64 s[54:55], vcc
	s_cbranch_execz .LBB1_26
; %bb.20:                               ;   in Loop: Header=BB1_3 Depth=1
	v_cmp_lt_i64_e32 vcc, -1, v[6:7]
	v_cmp_gt_i64_e64 s[0:1], s[10:11], v[6:7]
	s_mov_b64 s[56:57], 0
	s_and_b64 s[62:63], vcc, s[0:1]
	v_mov_b32_e32 v13, 0
	s_and_saveexec_b64 s[0:1], s[62:63]
	s_cbranch_execz .LBB1_25
; %bb.21:                               ;   in Loop: Header=BB1_3 Depth=1
	v_mul_lo_u32 v15, s17, v3
	v_mul_lo_u32 v16, s16, v12
	v_mad_u64_u32 v[13:14], s[56:57], s16, v3, 0
	v_mul_lo_u32 v18, s19, v6
	v_mul_lo_u32 v19, s18, v7
	v_add3_u32 v14, v14, v16, v15
	v_mad_u64_u32 v[15:16], s[56:57], s18, v6, 0
	v_lshlrev_b64 v[13:14], 2, v[13:14]
	v_mov_b32_e32 v17, s7
	v_add_co_u32_e32 v20, vcc, s6, v13
	v_add3_u32 v16, v16, v19, v18
	v_addc_co_u32_e32 v17, vcc, v17, v14, vcc
	v_lshlrev_b64 v[13:14], 2, v[15:16]
	v_mul_lo_u32 v18, s21, v8
	v_mul_lo_u32 v19, s20, v9
	v_mad_u64_u32 v[15:16], s[56:57], s20, v8, 0
	v_add_co_u32_e32 v20, vcc, v20, v13
	v_add3_u32 v16, v16, v19, v18
	v_addc_co_u32_e32 v17, vcc, v17, v14, vcc
	v_lshlrev_b64 v[13:14], 2, v[15:16]
	v_mul_lo_u32 v18, s23, v10
	v_mul_lo_u32 v19, s22, v11
	v_mad_u64_u32 v[15:16], s[56:57], s22, v10, 0
	v_add_co_u32_e32 v20, vcc, v20, v13
	v_add3_u32 v16, v16, v19, v18
	v_addc_co_u32_e32 v17, vcc, v17, v14, vcc
	v_lshlrev_b64 v[13:14], 2, v[15:16]
	v_add_co_u32_e32 v13, vcc, v20, v13
	v_addc_co_u32_e32 v14, vcc, v17, v14, vcc
	global_load_dword v13, v[13:14], off
	s_andn2_b64 vcc, exec, s[48:49]
	s_cbranch_vccnz .LBB1_23
; %bb.22:                               ;   in Loop: Header=BB1_3 Depth=1
	v_lshlrev_b64 v[6:7], 2, v[6:7]
	v_mov_b32_e32 v14, s37
	v_add_co_u32_e32 v6, vcc, s36, v6
	v_addc_co_u32_e32 v7, vcc, v14, v7, vcc
	global_load_dword v6, v[6:7], off
	s_branch .LBB1_24
.LBB1_23:                               ;   in Loop: Header=BB1_3 Depth=1
	v_mov_b32_e32 v6, 1.0
.LBB1_24:                               ;   in Loop: Header=BB1_3 Depth=1
	s_mov_b64 s[56:57], exec
	s_waitcnt vmcnt(0)
	v_mul_f32_e64 v13, v6, -v13
.LBB1_25:                               ;   in Loop: Header=BB1_3 Depth=1
	s_or_b64 exec, exec, s[0:1]
	s_orn2_b64 s[56:57], s[56:57], exec
.LBB1_26:                               ;   in Loop: Header=BB1_3 Depth=1
	s_or_b64 exec, exec, s[54:55]
	s_or_b64 s[52:53], s[52:53], exec
	s_and_saveexec_b64 s[0:1], s[56:57]
	s_cbranch_execz .LBB1_2
; %bb.27:                               ;   in Loop: Header=BB1_3 Depth=1
	v_mul_lo_u32 v14, s41, v3
	v_mul_lo_u32 v12, s40, v12
	v_mad_u64_u32 v[6:7], s[2:3], s40, v3, 0
	v_mov_b32_e32 v3, s31
	v_mul_lo_u32 v11, s50, v11
	v_add3_u32 v7, v7, v12, v14
	v_mul_lo_u32 v12, s43, v8
	v_mul_lo_u32 v14, s42, v9
	v_mad_u64_u32 v[8:9], s[2:3], s42, v8, 0
	v_lshlrev_b64 v[6:7], 2, v[6:7]
	s_andn2_b64 s[52:53], s[52:53], exec
	v_add_co_u32_e32 v15, vcc, s30, v6
	v_add3_u32 v9, v9, v14, v12
	v_addc_co_u32_e32 v3, vcc, v3, v7, vcc
	v_lshlrev_b64 v[6:7], 2, v[8:9]
	v_mul_lo_u32 v12, s51, v10
	v_mad_u64_u32 v[8:9], s[2:3], s50, v10, 0
	v_add_co_u32_e32 v10, vcc, v15, v6
	v_add3_u32 v9, v9, v11, v12
	v_addc_co_u32_e32 v3, vcc, v3, v7, vcc
	v_lshlrev_b64 v[6:7], 2, v[8:9]
	v_add_co_u32_e32 v6, vcc, v10, v6
	v_addc_co_u32_e32 v7, vcc, v3, v7, vcc
	v_add_co_u32_e32 v0, vcc, s59, v0
	v_addc_co_u32_e32 v1, vcc, 0, v1, vcc
	v_mov_b32_e32 v3, s60
	v_add_co_u32_e32 v4, vcc, 0, v4
	v_addc_co_u32_e32 v5, vcc, v5, v3, vcc
	v_cmp_le_i64_e32 vcc, s[34:35], v[0:1]
	global_store_dword v[6:7], v13, off
	s_orn2_b64 s[2:3], vcc, exec
	s_branch .LBB1_2
.LBB1_28:
	s_or_b64 exec, exec, s[46:47]
	s_and_saveexec_b64 s[0:1], s[4:5]
	s_xor_b64 s[0:1], exec, s[0:1]
	s_cbranch_execnz .LBB1_30
.LBB1_29:
	s_endpgm
.LBB1_30:
	s_trap 2
	; divergent unreachable
	s_endpgm
	.section	.rodata,"a",@progbits
	.p2align	6, 0x0
	.amdhsa_kernel _ZN2at6native12_GLOBAL__N_135nll_loss2d_forward_no_reduce_kernelIfEEvlN5torch10headeronly6detail27GenericPackedTensorAccessorINS5_14TensorAccessorIN3c108ArrayRefIlEET_Lm3ENS4_16DefaultPtrTraitsElEENS_6detail16IndexBoundsCheckILm4ElEESB_Lm4ESC_lEENS6_INS7_ISA_lLm2ESC_lEENSF_ILm3ElEElLm3ESC_lEENS6_INS7_ISA_SB_Lm2ESC_lEESJ_SB_Lm3ESC_lEEPKSB_l
		.amdhsa_group_segment_fixed_size 0
		.amdhsa_private_segment_fixed_size 0
		.amdhsa_kernarg_size 464
		.amdhsa_user_sgpr_count 6
		.amdhsa_user_sgpr_private_segment_buffer 1
		.amdhsa_user_sgpr_dispatch_ptr 0
		.amdhsa_user_sgpr_queue_ptr 0
		.amdhsa_user_sgpr_kernarg_segment_ptr 1
		.amdhsa_user_sgpr_dispatch_id 0
		.amdhsa_user_sgpr_flat_scratch_init 0
		.amdhsa_user_sgpr_private_segment_size 0
		.amdhsa_uses_dynamic_stack 0
		.amdhsa_system_sgpr_private_segment_wavefront_offset 0
		.amdhsa_system_sgpr_workgroup_id_x 1
		.amdhsa_system_sgpr_workgroup_id_y 0
		.amdhsa_system_sgpr_workgroup_id_z 0
		.amdhsa_system_sgpr_workgroup_info 0
		.amdhsa_system_vgpr_workitem_id 0
		.amdhsa_next_free_vgpr 22
		.amdhsa_next_free_sgpr 68
		.amdhsa_reserve_vcc 1
		.amdhsa_reserve_flat_scratch 0
		.amdhsa_float_round_mode_32 0
		.amdhsa_float_round_mode_16_64 0
		.amdhsa_float_denorm_mode_32 3
		.amdhsa_float_denorm_mode_16_64 3
		.amdhsa_dx10_clamp 1
		.amdhsa_ieee_mode 1
		.amdhsa_fp16_overflow 0
		.amdhsa_exception_fp_ieee_invalid_op 0
		.amdhsa_exception_fp_denorm_src 0
		.amdhsa_exception_fp_ieee_div_zero 0
		.amdhsa_exception_fp_ieee_overflow 0
		.amdhsa_exception_fp_ieee_underflow 0
		.amdhsa_exception_fp_ieee_inexact 0
		.amdhsa_exception_int_div_zero 0
	.end_amdhsa_kernel
	.section	.text._ZN2at6native12_GLOBAL__N_135nll_loss2d_forward_no_reduce_kernelIfEEvlN5torch10headeronly6detail27GenericPackedTensorAccessorINS5_14TensorAccessorIN3c108ArrayRefIlEET_Lm3ENS4_16DefaultPtrTraitsElEENS_6detail16IndexBoundsCheckILm4ElEESB_Lm4ESC_lEENS6_INS7_ISA_lLm2ESC_lEENSF_ILm3ElEElLm3ESC_lEENS6_INS7_ISA_SB_Lm2ESC_lEESJ_SB_Lm3ESC_lEEPKSB_l,"axG",@progbits,_ZN2at6native12_GLOBAL__N_135nll_loss2d_forward_no_reduce_kernelIfEEvlN5torch10headeronly6detail27GenericPackedTensorAccessorINS5_14TensorAccessorIN3c108ArrayRefIlEET_Lm3ENS4_16DefaultPtrTraitsElEENS_6detail16IndexBoundsCheckILm4ElEESB_Lm4ESC_lEENS6_INS7_ISA_lLm2ESC_lEENSF_ILm3ElEElLm3ESC_lEENS6_INS7_ISA_SB_Lm2ESC_lEESJ_SB_Lm3ESC_lEEPKSB_l,comdat
.Lfunc_end1:
	.size	_ZN2at6native12_GLOBAL__N_135nll_loss2d_forward_no_reduce_kernelIfEEvlN5torch10headeronly6detail27GenericPackedTensorAccessorINS5_14TensorAccessorIN3c108ArrayRefIlEET_Lm3ENS4_16DefaultPtrTraitsElEENS_6detail16IndexBoundsCheckILm4ElEESB_Lm4ESC_lEENS6_INS7_ISA_lLm2ESC_lEENSF_ILm3ElEElLm3ESC_lEENS6_INS7_ISA_SB_Lm2ESC_lEESJ_SB_Lm3ESC_lEEPKSB_l, .Lfunc_end1-_ZN2at6native12_GLOBAL__N_135nll_loss2d_forward_no_reduce_kernelIfEEvlN5torch10headeronly6detail27GenericPackedTensorAccessorINS5_14TensorAccessorIN3c108ArrayRefIlEET_Lm3ENS4_16DefaultPtrTraitsElEENS_6detail16IndexBoundsCheckILm4ElEESB_Lm4ESC_lEENS6_INS7_ISA_lLm2ESC_lEENSF_ILm3ElEElLm3ESC_lEENS6_INS7_ISA_SB_Lm2ESC_lEESJ_SB_Lm3ESC_lEEPKSB_l
                                        ; -- End function
	.set _ZN2at6native12_GLOBAL__N_135nll_loss2d_forward_no_reduce_kernelIfEEvlN5torch10headeronly6detail27GenericPackedTensorAccessorINS5_14TensorAccessorIN3c108ArrayRefIlEET_Lm3ENS4_16DefaultPtrTraitsElEENS_6detail16IndexBoundsCheckILm4ElEESB_Lm4ESC_lEENS6_INS7_ISA_lLm2ESC_lEENSF_ILm3ElEElLm3ESC_lEENS6_INS7_ISA_SB_Lm2ESC_lEESJ_SB_Lm3ESC_lEEPKSB_l.num_vgpr, 22
	.set _ZN2at6native12_GLOBAL__N_135nll_loss2d_forward_no_reduce_kernelIfEEvlN5torch10headeronly6detail27GenericPackedTensorAccessorINS5_14TensorAccessorIN3c108ArrayRefIlEET_Lm3ENS4_16DefaultPtrTraitsElEENS_6detail16IndexBoundsCheckILm4ElEESB_Lm4ESC_lEENS6_INS7_ISA_lLm2ESC_lEENSF_ILm3ElEElLm3ESC_lEENS6_INS7_ISA_SB_Lm2ESC_lEESJ_SB_Lm3ESC_lEEPKSB_l.num_agpr, 0
	.set _ZN2at6native12_GLOBAL__N_135nll_loss2d_forward_no_reduce_kernelIfEEvlN5torch10headeronly6detail27GenericPackedTensorAccessorINS5_14TensorAccessorIN3c108ArrayRefIlEET_Lm3ENS4_16DefaultPtrTraitsElEENS_6detail16IndexBoundsCheckILm4ElEESB_Lm4ESC_lEENS6_INS7_ISA_lLm2ESC_lEENSF_ILm3ElEElLm3ESC_lEENS6_INS7_ISA_SB_Lm2ESC_lEESJ_SB_Lm3ESC_lEEPKSB_l.numbered_sgpr, 68
	.set _ZN2at6native12_GLOBAL__N_135nll_loss2d_forward_no_reduce_kernelIfEEvlN5torch10headeronly6detail27GenericPackedTensorAccessorINS5_14TensorAccessorIN3c108ArrayRefIlEET_Lm3ENS4_16DefaultPtrTraitsElEENS_6detail16IndexBoundsCheckILm4ElEESB_Lm4ESC_lEENS6_INS7_ISA_lLm2ESC_lEENSF_ILm3ElEElLm3ESC_lEENS6_INS7_ISA_SB_Lm2ESC_lEESJ_SB_Lm3ESC_lEEPKSB_l.num_named_barrier, 0
	.set _ZN2at6native12_GLOBAL__N_135nll_loss2d_forward_no_reduce_kernelIfEEvlN5torch10headeronly6detail27GenericPackedTensorAccessorINS5_14TensorAccessorIN3c108ArrayRefIlEET_Lm3ENS4_16DefaultPtrTraitsElEENS_6detail16IndexBoundsCheckILm4ElEESB_Lm4ESC_lEENS6_INS7_ISA_lLm2ESC_lEENSF_ILm3ElEElLm3ESC_lEENS6_INS7_ISA_SB_Lm2ESC_lEESJ_SB_Lm3ESC_lEEPKSB_l.private_seg_size, 0
	.set _ZN2at6native12_GLOBAL__N_135nll_loss2d_forward_no_reduce_kernelIfEEvlN5torch10headeronly6detail27GenericPackedTensorAccessorINS5_14TensorAccessorIN3c108ArrayRefIlEET_Lm3ENS4_16DefaultPtrTraitsElEENS_6detail16IndexBoundsCheckILm4ElEESB_Lm4ESC_lEENS6_INS7_ISA_lLm2ESC_lEENSF_ILm3ElEElLm3ESC_lEENS6_INS7_ISA_SB_Lm2ESC_lEESJ_SB_Lm3ESC_lEEPKSB_l.uses_vcc, 1
	.set _ZN2at6native12_GLOBAL__N_135nll_loss2d_forward_no_reduce_kernelIfEEvlN5torch10headeronly6detail27GenericPackedTensorAccessorINS5_14TensorAccessorIN3c108ArrayRefIlEET_Lm3ENS4_16DefaultPtrTraitsElEENS_6detail16IndexBoundsCheckILm4ElEESB_Lm4ESC_lEENS6_INS7_ISA_lLm2ESC_lEENSF_ILm3ElEElLm3ESC_lEENS6_INS7_ISA_SB_Lm2ESC_lEESJ_SB_Lm3ESC_lEEPKSB_l.uses_flat_scratch, 0
	.set _ZN2at6native12_GLOBAL__N_135nll_loss2d_forward_no_reduce_kernelIfEEvlN5torch10headeronly6detail27GenericPackedTensorAccessorINS5_14TensorAccessorIN3c108ArrayRefIlEET_Lm3ENS4_16DefaultPtrTraitsElEENS_6detail16IndexBoundsCheckILm4ElEESB_Lm4ESC_lEENS6_INS7_ISA_lLm2ESC_lEENSF_ILm3ElEElLm3ESC_lEENS6_INS7_ISA_SB_Lm2ESC_lEESJ_SB_Lm3ESC_lEEPKSB_l.has_dyn_sized_stack, 0
	.set _ZN2at6native12_GLOBAL__N_135nll_loss2d_forward_no_reduce_kernelIfEEvlN5torch10headeronly6detail27GenericPackedTensorAccessorINS5_14TensorAccessorIN3c108ArrayRefIlEET_Lm3ENS4_16DefaultPtrTraitsElEENS_6detail16IndexBoundsCheckILm4ElEESB_Lm4ESC_lEENS6_INS7_ISA_lLm2ESC_lEENSF_ILm3ElEElLm3ESC_lEENS6_INS7_ISA_SB_Lm2ESC_lEESJ_SB_Lm3ESC_lEEPKSB_l.has_recursion, 0
	.set _ZN2at6native12_GLOBAL__N_135nll_loss2d_forward_no_reduce_kernelIfEEvlN5torch10headeronly6detail27GenericPackedTensorAccessorINS5_14TensorAccessorIN3c108ArrayRefIlEET_Lm3ENS4_16DefaultPtrTraitsElEENS_6detail16IndexBoundsCheckILm4ElEESB_Lm4ESC_lEENS6_INS7_ISA_lLm2ESC_lEENSF_ILm3ElEElLm3ESC_lEENS6_INS7_ISA_SB_Lm2ESC_lEESJ_SB_Lm3ESC_lEEPKSB_l.has_indirect_call, 0
	.section	.AMDGPU.csdata,"",@progbits
; Kernel info:
; codeLenInByte = 3916
; TotalNumSgprs: 72
; NumVgprs: 22
; ScratchSize: 0
; MemoryBound: 0
; FloatMode: 240
; IeeeMode: 1
; LDSByteSize: 0 bytes/workgroup (compile time only)
; SGPRBlocks: 8
; VGPRBlocks: 5
; NumSGPRsForWavesPerEU: 72
; NumVGPRsForWavesPerEU: 22
; Occupancy: 10
; WaveLimiterHint : 1
; COMPUTE_PGM_RSRC2:SCRATCH_EN: 0
; COMPUTE_PGM_RSRC2:USER_SGPR: 6
; COMPUTE_PGM_RSRC2:TRAP_HANDLER: 0
; COMPUTE_PGM_RSRC2:TGID_X_EN: 1
; COMPUTE_PGM_RSRC2:TGID_Y_EN: 0
; COMPUTE_PGM_RSRC2:TGID_Z_EN: 0
; COMPUTE_PGM_RSRC2:TIDIG_COMP_CNT: 0
	.section	.text._ZN2at6native12_GLOBAL__N_135nll_loss2d_forward_no_reduce_kernelIN3c104HalfEEEvlN5torch10headeronly6detail27GenericPackedTensorAccessorINS7_14TensorAccessorINS3_8ArrayRefIlEET_Lm3ENS6_16DefaultPtrTraitsElEENS_6detail16IndexBoundsCheckILm4ElEESC_Lm4ESD_lEENS8_INS9_ISB_lLm2ESD_lEENSG_ILm3ElEElLm3ESD_lEENS8_INS9_ISB_SC_Lm2ESD_lEESK_SC_Lm3ESD_lEEPKSC_l,"axG",@progbits,_ZN2at6native12_GLOBAL__N_135nll_loss2d_forward_no_reduce_kernelIN3c104HalfEEEvlN5torch10headeronly6detail27GenericPackedTensorAccessorINS7_14TensorAccessorINS3_8ArrayRefIlEET_Lm3ENS6_16DefaultPtrTraitsElEENS_6detail16IndexBoundsCheckILm4ElEESC_Lm4ESD_lEENS8_INS9_ISB_lLm2ESD_lEENSG_ILm3ElEElLm3ESD_lEENS8_INS9_ISB_SC_Lm2ESD_lEESK_SC_Lm3ESD_lEEPKSC_l,comdat
	.globl	_ZN2at6native12_GLOBAL__N_135nll_loss2d_forward_no_reduce_kernelIN3c104HalfEEEvlN5torch10headeronly6detail27GenericPackedTensorAccessorINS7_14TensorAccessorINS3_8ArrayRefIlEET_Lm3ENS6_16DefaultPtrTraitsElEENS_6detail16IndexBoundsCheckILm4ElEESC_Lm4ESD_lEENS8_INS9_ISB_lLm2ESD_lEENSG_ILm3ElEElLm3ESD_lEENS8_INS9_ISB_SC_Lm2ESD_lEESK_SC_Lm3ESD_lEEPKSC_l ; -- Begin function _ZN2at6native12_GLOBAL__N_135nll_loss2d_forward_no_reduce_kernelIN3c104HalfEEEvlN5torch10headeronly6detail27GenericPackedTensorAccessorINS7_14TensorAccessorINS3_8ArrayRefIlEET_Lm3ENS6_16DefaultPtrTraitsElEENS_6detail16IndexBoundsCheckILm4ElEESC_Lm4ESD_lEENS8_INS9_ISB_lLm2ESD_lEENSG_ILm3ElEElLm3ESD_lEENS8_INS9_ISB_SC_Lm2ESD_lEESK_SC_Lm3ESD_lEEPKSC_l
	.p2align	8
	.type	_ZN2at6native12_GLOBAL__N_135nll_loss2d_forward_no_reduce_kernelIN3c104HalfEEEvlN5torch10headeronly6detail27GenericPackedTensorAccessorINS7_14TensorAccessorINS3_8ArrayRefIlEET_Lm3ENS6_16DefaultPtrTraitsElEENS_6detail16IndexBoundsCheckILm4ElEESC_Lm4ESD_lEENS8_INS9_ISB_lLm2ESD_lEENSG_ILm3ElEElLm3ESD_lEENS8_INS9_ISB_SC_Lm2ESD_lEESK_SC_Lm3ESD_lEEPKSC_l,@function
_ZN2at6native12_GLOBAL__N_135nll_loss2d_forward_no_reduce_kernelIN3c104HalfEEEvlN5torch10headeronly6detail27GenericPackedTensorAccessorINS7_14TensorAccessorINS3_8ArrayRefIlEET_Lm3ENS6_16DefaultPtrTraitsElEENS_6detail16IndexBoundsCheckILm4ElEESC_Lm4ESD_lEENS8_INS9_ISB_lLm2ESD_lEENSG_ILm3ElEElLm3ESD_lEENS8_INS9_ISB_SC_Lm2ESD_lEESK_SC_Lm3ESD_lEEPKSC_l: ; @_ZN2at6native12_GLOBAL__N_135nll_loss2d_forward_no_reduce_kernelIN3c104HalfEEEvlN5torch10headeronly6detail27GenericPackedTensorAccessorINS7_14TensorAccessorINS3_8ArrayRefIlEET_Lm3ENS6_16DefaultPtrTraitsElEENS_6detail16IndexBoundsCheckILm4ElEESC_Lm4ESD_lEENS8_INS9_ISB_lLm2ESD_lEENSG_ILm3ElEElLm3ESD_lEENS8_INS9_ISB_SC_Lm2ESD_lEESK_SC_Lm3ESD_lEEPKSC_l
; %bb.0:
	s_load_dword s2, s[4:5], 0xdc
	s_load_dwordx2 s[34:35], s[4:5], 0x0
	s_add_u32 s0, s4, 0xd0
	v_mov_b32_e32 v2, 0
	s_addc_u32 s1, s5, 0
	s_waitcnt lgkmcnt(0)
	s_and_b32 s2, s2, 0xffff
	v_mov_b32_e32 v1, v2
	v_mov_b32_e32 v3, s6
	v_mad_u64_u32 v[0:1], s[6:7], s2, v3, v[0:1]
	v_cmp_gt_i64_e32 vcc, s[34:35], v[0:1]
	s_and_saveexec_b64 s[6:7], vcc
	s_cbranch_execz .LBB2_31
; %bb.1:
	s_load_dwordx8 s[8:15], s[4:5], 0x10
	s_load_dwordx4 s[36:39], s[4:5], 0xc0
	s_load_dwordx2 s[6:7], s[4:5], 0x8
	s_load_dwordx8 s[16:23], s[4:5], 0x30
	s_load_dword s3, s[0:1], 0x0
	s_waitcnt lgkmcnt(0)
	s_mul_i32 s0, s12, s9
	s_mul_hi_u32 s1, s12, s8
	s_load_dwordx2 s[44:45], s[4:5], 0x50
	s_load_dwordx8 s[24:31], s[4:5], 0x70
	s_load_dwordx2 s[50:51], s[4:5], 0xb8
	s_load_dwordx4 s[40:43], s[4:5], 0xa8
	s_add_i32 s0, s1, s0
	s_mul_i32 s1, s13, s8
	s_add_i32 s33, s0, s1
	v_mov_b32_e32 v3, v0
	s_cmp_lg_u64 s[36:37], 0
	s_mul_i32 s59, s3, s2
	v_mov_b32_e32 v5, v3
	s_mul_i32 s58, s12, s8
	s_mov_b64 s[46:47], 0
	s_cselect_b64 s[48:49], -1, 0
	s_mov_b32 s60, s59
	v_mov_b32_e32 v4, v2
                                        ; implicit-def: $sgpr4_sgpr5
                                        ; implicit-def: $sgpr52_sgpr53
	s_branch .LBB2_3
.LBB2_2:                                ;   in Loop: Header=BB2_3 Depth=1
	s_or_b64 exec, exec, s[2:3]
	s_and_b64 s[0:1], exec, s[54:55]
	s_or_b64 s[46:47], s[0:1], s[46:47]
	s_andn2_b64 s[0:1], s[4:5], exec
	s_and_b64 s[2:3], s[52:53], exec
	s_or_b64 s[4:5], s[0:1], s[2:3]
	s_andn2_b64 exec, exec, s[46:47]
	s_cbranch_execz .LBB2_30
.LBB2_3:                                ; =>This Inner Loop Header: Depth=1
	v_ashrrev_i32_e32 v14, 31, v5
	v_or_b32_e32 v3, s9, v14
	v_cmp_ne_u64_e32 vcc, 0, v[2:3]
	v_mov_b32_e32 v15, v5
	v_ashrrev_i32_e32 v10, 31, v14
                                        ; implicit-def: $vgpr6_vgpr7
	s_and_saveexec_b64 s[0:1], vcc
	s_xor_b64 s[2:3], exec, s[0:1]
	s_cbranch_execz .LBB2_5
; %bb.4:                                ;   in Loop: Header=BB2_3 Depth=1
	s_ashr_i32 s54, s9, 31
	s_add_u32 s0, s8, s54
	s_mov_b32 s55, s54
	s_addc_u32 s1, s9, s54
	s_xor_b64 s[56:57], s[0:1], s[54:55]
	v_cvt_f32_u32_e32 v3, s56
	v_cvt_f32_u32_e32 v6, s57
	s_sub_u32 s55, 0, s56
	s_subb_u32 s61, 0, s57
	v_mac_f32_e32 v3, 0x4f800000, v6
	v_rcp_f32_e32 v3, v3
	v_mul_f32_e32 v3, 0x5f7ffffc, v3
	v_mul_f32_e32 v6, 0x2f800000, v3
	v_trunc_f32_e32 v6, v6
	v_mac_f32_e32 v3, 0xcf800000, v6
	v_cvt_u32_f32_e32 v6, v6
	v_cvt_u32_f32_e32 v3, v3
	v_readfirstlane_b32 s62, v6
	v_readfirstlane_b32 s0, v3
	s_mul_i32 s1, s55, s62
	s_mul_hi_u32 s64, s55, s0
	s_mul_i32 s63, s61, s0
	s_add_i32 s1, s64, s1
	s_add_i32 s1, s1, s63
	s_mul_i32 s65, s55, s0
	s_mul_i32 s64, s0, s1
	s_mul_hi_u32 s66, s0, s65
	s_mul_hi_u32 s63, s0, s1
	s_add_u32 s64, s66, s64
	s_addc_u32 s63, 0, s63
	s_mul_hi_u32 s67, s62, s65
	s_mul_i32 s65, s62, s65
	s_add_u32 s64, s64, s65
	s_mul_hi_u32 s66, s62, s1
	s_addc_u32 s63, s63, s67
	s_addc_u32 s64, s66, 0
	s_mul_i32 s1, s62, s1
	s_add_u32 s1, s63, s1
	s_addc_u32 s63, 0, s64
	s_add_u32 s64, s0, s1
	s_cselect_b64 s[0:1], -1, 0
	s_cmp_lg_u64 s[0:1], 0
	s_addc_u32 s62, s62, s63
	s_mul_i32 s0, s55, s62
	s_mul_hi_u32 s1, s55, s64
	s_add_i32 s0, s1, s0
	s_mul_i32 s61, s61, s64
	s_add_i32 s0, s0, s61
	s_mul_i32 s55, s55, s64
	s_mul_hi_u32 s61, s62, s55
	s_mul_i32 s63, s62, s55
	s_mul_i32 s66, s64, s0
	s_mul_hi_u32 s55, s64, s55
	s_mul_hi_u32 s65, s64, s0
	s_add_u32 s55, s55, s66
	s_addc_u32 s65, 0, s65
	s_add_u32 s55, s55, s63
	s_mul_hi_u32 s1, s62, s0
	s_addc_u32 s55, s65, s61
	s_addc_u32 s1, s1, 0
	s_mul_i32 s0, s62, s0
	s_add_u32 s0, s55, s0
	s_addc_u32 s55, 0, s1
	s_add_u32 s61, s64, s0
	s_cselect_b64 s[0:1], -1, 0
	s_cmp_lg_u64 s[0:1], 0
	v_add_co_u32_e32 v3, vcc, v15, v10
	s_addc_u32 s55, s62, s55
	v_xor_b32_e32 v3, v3, v10
	v_mad_u64_u32 v[6:7], s[0:1], v3, s55, 0
	v_mul_hi_u32 v9, v3, s61
	v_addc_co_u32_e32 v8, vcc, v14, v10, vcc
	v_xor_b32_e32 v11, v8, v10
	v_add_co_u32_e32 v12, vcc, v9, v6
	v_addc_co_u32_e32 v13, vcc, 0, v7, vcc
	v_mad_u64_u32 v[6:7], s[0:1], v11, s61, 0
	v_mad_u64_u32 v[8:9], s[0:1], v11, s55, 0
	v_add_co_u32_e32 v6, vcc, v12, v6
	v_addc_co_u32_e32 v6, vcc, v13, v7, vcc
	v_addc_co_u32_e32 v7, vcc, 0, v9, vcc
	v_add_co_u32_e32 v8, vcc, v6, v8
	v_addc_co_u32_e32 v9, vcc, 0, v7, vcc
	v_mul_lo_u32 v12, s57, v8
	v_mul_lo_u32 v13, s56, v9
	v_mad_u64_u32 v[6:7], s[0:1], s56, v8, 0
	v_add3_u32 v7, v7, v13, v12
	v_sub_u32_e32 v12, v11, v7
	v_mov_b32_e32 v13, s57
	v_sub_co_u32_e32 v3, vcc, v3, v6
	v_subb_co_u32_e64 v6, s[0:1], v12, v13, vcc
	v_subrev_co_u32_e64 v12, s[0:1], s56, v3
	v_subbrev_co_u32_e64 v6, s[0:1], 0, v6, s[0:1]
	v_cmp_le_u32_e64 s[0:1], s57, v6
	v_cndmask_b32_e64 v13, 0, -1, s[0:1]
	v_cmp_le_u32_e64 s[0:1], s56, v12
	v_cndmask_b32_e64 v12, 0, -1, s[0:1]
	v_cmp_eq_u32_e64 s[0:1], s57, v6
	v_cndmask_b32_e64 v6, v13, v12, s[0:1]
	v_add_co_u32_e64 v12, s[0:1], 2, v8
	v_subb_co_u32_e32 v7, vcc, v11, v7, vcc
	v_addc_co_u32_e64 v13, s[0:1], 0, v9, s[0:1]
	v_cmp_le_u32_e32 vcc, s57, v7
	v_add_co_u32_e64 v16, s[0:1], 1, v8
	v_cndmask_b32_e64 v11, 0, -1, vcc
	v_cmp_le_u32_e32 vcc, s56, v3
	v_addc_co_u32_e64 v17, s[0:1], 0, v9, s[0:1]
	v_cndmask_b32_e64 v3, 0, -1, vcc
	v_cmp_eq_u32_e32 vcc, s57, v7
	v_cmp_ne_u32_e64 s[0:1], 0, v6
	v_cndmask_b32_e32 v3, v11, v3, vcc
	v_cndmask_b32_e64 v6, v17, v13, s[0:1]
	v_cmp_ne_u32_e32 vcc, 0, v3
	v_cndmask_b32_e32 v3, v9, v6, vcc
	v_cndmask_b32_e64 v6, v16, v12, s[0:1]
	v_cndmask_b32_e32 v6, v8, v6, vcc
	v_xor_b32_e32 v7, s54, v10
	v_xor_b32_e32 v6, v6, v7
	v_xor_b32_e32 v3, v3, v7
	v_sub_co_u32_e32 v6, vcc, v6, v7
	v_subb_co_u32_e32 v7, vcc, v3, v7, vcc
.LBB2_5:                                ;   in Loop: Header=BB2_3 Depth=1
	s_andn2_saveexec_b64 s[0:1], s[2:3]
	s_cbranch_execz .LBB2_7
; %bb.6:                                ;   in Loop: Header=BB2_3 Depth=1
	v_cvt_f32_u32_e32 v3, s8
	s_sub_i32 s2, 0, s8
	v_rcp_iflag_f32_e32 v3, v3
	v_mul_f32_e32 v3, 0x4f7ffffe, v3
	v_cvt_u32_f32_e32 v3, v3
	v_mul_lo_u32 v6, s2, v3
	v_mul_hi_u32 v6, v3, v6
	v_add_u32_e32 v3, v3, v6
	v_mul_hi_u32 v3, v15, v3
	v_mul_lo_u32 v6, v3, s8
	v_add_u32_e32 v7, 1, v3
	v_sub_u32_e32 v6, v15, v6
	v_subrev_u32_e32 v8, s8, v6
	v_cmp_le_u32_e32 vcc, s8, v6
	v_cndmask_b32_e32 v6, v6, v8, vcc
	v_cndmask_b32_e32 v3, v3, v7, vcc
	v_add_u32_e32 v7, 1, v3
	v_cmp_le_u32_e32 vcc, s8, v6
	v_cndmask_b32_e32 v6, v3, v7, vcc
	v_mov_b32_e32 v7, v2
.LBB2_7:                                ;   in Loop: Header=BB2_3 Depth=1
	s_or_b64 exec, exec, s[0:1]
	v_or_b32_e32 v3, s13, v7
	v_cmp_ne_u64_e32 vcc, 0, v[2:3]
                                        ; implicit-def: $vgpr8_vgpr9
	s_and_saveexec_b64 s[0:1], vcc
	s_xor_b64 s[54:55], exec, s[0:1]
	s_cbranch_execz .LBB2_9
; %bb.8:                                ;   in Loop: Header=BB2_3 Depth=1
	s_ashr_i32 s0, s13, 31
	s_add_u32 s2, s12, s0
	s_mov_b32 s1, s0
	s_addc_u32 s3, s13, s0
	s_xor_b64 s[56:57], s[2:3], s[0:1]
	v_cvt_f32_u32_e32 v3, s56
	v_cvt_f32_u32_e32 v8, s57
	s_sub_u32 s2, 0, s56
	s_subb_u32 s3, 0, s57
	v_mac_f32_e32 v3, 0x4f800000, v8
	v_rcp_f32_e32 v3, v3
	v_mul_f32_e32 v3, 0x5f7ffffc, v3
	v_mul_f32_e32 v8, 0x2f800000, v3
	v_trunc_f32_e32 v8, v8
	v_mac_f32_e32 v3, 0xcf800000, v8
	v_cvt_u32_f32_e32 v8, v8
	v_cvt_u32_f32_e32 v3, v3
	v_readfirstlane_b32 s61, v8
	v_readfirstlane_b32 s0, v3
	s_mul_i32 s1, s2, s61
	s_mul_hi_u32 s63, s2, s0
	s_mul_i32 s62, s3, s0
	s_add_i32 s1, s63, s1
	s_add_i32 s1, s1, s62
	s_mul_i32 s64, s2, s0
	s_mul_i32 s63, s0, s1
	s_mul_hi_u32 s65, s0, s64
	s_mul_hi_u32 s62, s0, s1
	s_add_u32 s63, s65, s63
	s_addc_u32 s62, 0, s62
	s_mul_hi_u32 s66, s61, s64
	s_mul_i32 s64, s61, s64
	s_add_u32 s63, s63, s64
	s_mul_hi_u32 s65, s61, s1
	s_addc_u32 s62, s62, s66
	s_addc_u32 s63, s65, 0
	s_mul_i32 s1, s61, s1
	s_add_u32 s1, s62, s1
	s_addc_u32 s62, 0, s63
	s_add_u32 s63, s0, s1
	s_cselect_b64 s[0:1], -1, 0
	s_cmp_lg_u64 s[0:1], 0
	s_addc_u32 s61, s61, s62
	s_mul_i32 s0, s2, s61
	s_mul_hi_u32 s1, s2, s63
	s_add_i32 s0, s1, s0
	s_mul_i32 s3, s3, s63
	s_add_i32 s0, s0, s3
	s_mul_i32 s2, s2, s63
	s_mul_hi_u32 s3, s61, s2
	s_mul_i32 s62, s61, s2
	s_mul_i32 s65, s63, s0
	s_mul_hi_u32 s2, s63, s2
	s_mul_hi_u32 s64, s63, s0
	s_add_u32 s2, s2, s65
	s_addc_u32 s64, 0, s64
	s_add_u32 s2, s2, s62
	s_mul_hi_u32 s1, s61, s0
	s_addc_u32 s2, s64, s3
	s_addc_u32 s1, s1, 0
	s_mul_i32 s0, s61, s0
	s_add_u32 s0, s2, s0
	s_addc_u32 s2, 0, s1
	s_add_u32 s3, s63, s0
	s_cselect_b64 s[0:1], -1, 0
	v_ashrrev_i32_e32 v3, 31, v7
	s_cmp_lg_u64 s[0:1], 0
	v_add_co_u32_e32 v8, vcc, v6, v3
	s_addc_u32 s2, s61, s2
	v_xor_b32_e32 v13, v8, v3
	v_mad_u64_u32 v[8:9], s[0:1], v13, s2, 0
	v_mul_hi_u32 v12, v13, s3
	v_addc_co_u32_e32 v11, vcc, v7, v3, vcc
	v_xor_b32_e32 v16, v11, v3
	v_add_co_u32_e32 v17, vcc, v12, v8
	v_addc_co_u32_e32 v18, vcc, 0, v9, vcc
	v_mad_u64_u32 v[8:9], s[0:1], v16, s3, 0
	v_mad_u64_u32 v[11:12], s[0:1], v16, s2, 0
	v_add_co_u32_e32 v8, vcc, v17, v8
	v_addc_co_u32_e32 v8, vcc, v18, v9, vcc
	v_addc_co_u32_e32 v9, vcc, 0, v12, vcc
	v_add_co_u32_e32 v8, vcc, v8, v11
	v_addc_co_u32_e32 v9, vcc, 0, v9, vcc
	v_mul_lo_u32 v11, s57, v8
	v_mul_lo_u32 v12, s56, v9
	v_mad_u64_u32 v[8:9], s[0:1], s56, v8, 0
	v_add3_u32 v9, v9, v12, v11
	v_sub_u32_e32 v11, v16, v9
	v_mov_b32_e32 v12, s57
	v_sub_co_u32_e32 v8, vcc, v13, v8
	v_subb_co_u32_e64 v11, s[0:1], v11, v12, vcc
	v_subrev_co_u32_e64 v13, s[0:1], s56, v8
	v_subbrev_co_u32_e64 v17, s[2:3], 0, v11, s[0:1]
	v_cmp_le_u32_e64 s[2:3], s57, v17
	v_cndmask_b32_e64 v18, 0, -1, s[2:3]
	v_cmp_le_u32_e64 s[2:3], s56, v13
	v_subb_co_u32_e64 v11, s[0:1], v11, v12, s[0:1]
	v_cndmask_b32_e64 v19, 0, -1, s[2:3]
	v_cmp_eq_u32_e64 s[2:3], s57, v17
	v_subrev_co_u32_e64 v12, s[0:1], s56, v13
	v_subb_co_u32_e32 v9, vcc, v16, v9, vcc
	v_cndmask_b32_e64 v18, v18, v19, s[2:3]
	v_subbrev_co_u32_e64 v11, s[0:1], 0, v11, s[0:1]
	v_cmp_le_u32_e32 vcc, s57, v9
	v_cmp_ne_u32_e64 s[0:1], 0, v18
	v_cndmask_b32_e64 v16, 0, -1, vcc
	v_cmp_le_u32_e32 vcc, s56, v8
	v_cndmask_b32_e64 v11, v17, v11, s[0:1]
	v_cndmask_b32_e64 v17, 0, -1, vcc
	v_cmp_eq_u32_e32 vcc, s57, v9
	v_cndmask_b32_e32 v16, v16, v17, vcc
	v_cmp_ne_u32_e32 vcc, 0, v16
	v_cndmask_b32_e32 v9, v9, v11, vcc
	v_cndmask_b32_e64 v11, v13, v12, s[0:1]
	v_cndmask_b32_e32 v8, v8, v11, vcc
	v_xor_b32_e32 v8, v8, v3
	v_xor_b32_e32 v9, v9, v3
	v_sub_co_u32_e32 v8, vcc, v8, v3
	v_subb_co_u32_e32 v9, vcc, v9, v3, vcc
.LBB2_9:                                ;   in Loop: Header=BB2_3 Depth=1
	s_andn2_saveexec_b64 s[0:1], s[54:55]
	s_cbranch_execz .LBB2_11
; %bb.10:                               ;   in Loop: Header=BB2_3 Depth=1
	v_cvt_f32_u32_e32 v3, s12
	s_sub_i32 s2, 0, s12
	v_mov_b32_e32 v9, v2
	v_rcp_iflag_f32_e32 v3, v3
	v_mul_f32_e32 v3, 0x4f7ffffe, v3
	v_cvt_u32_f32_e32 v3, v3
	v_mul_lo_u32 v8, s2, v3
	v_mul_hi_u32 v8, v3, v8
	v_add_u32_e32 v3, v3, v8
	v_mul_hi_u32 v3, v6, v3
	v_mul_lo_u32 v3, v3, s12
	v_sub_u32_e32 v3, v6, v3
	v_subrev_u32_e32 v8, s12, v3
	v_cmp_le_u32_e32 vcc, s12, v3
	v_cndmask_b32_e32 v3, v3, v8, vcc
	v_subrev_u32_e32 v8, s12, v3
	v_cmp_le_u32_e32 vcc, s12, v3
	v_cndmask_b32_e32 v8, v3, v8, vcc
.LBB2_11:                               ;   in Loop: Header=BB2_3 Depth=1
	s_or_b64 exec, exec, s[0:1]
	v_or_b32_e32 v3, s33, v14
	v_cmp_ne_u64_e32 vcc, 0, v[2:3]
                                        ; implicit-def: $vgpr12_vgpr13
	s_and_saveexec_b64 s[0:1], vcc
	s_xor_b64 s[2:3], exec, s[0:1]
	s_cbranch_execz .LBB2_13
; %bb.12:                               ;   in Loop: Header=BB2_3 Depth=1
	s_ashr_i32 s54, s33, 31
	s_add_u32 s0, s58, s54
	s_mov_b32 s55, s54
	s_addc_u32 s1, s33, s54
	s_xor_b64 s[56:57], s[0:1], s[54:55]
	v_cvt_f32_u32_e32 v3, s56
	v_cvt_f32_u32_e32 v11, s57
	s_sub_u32 s55, 0, s56
	s_subb_u32 s61, 0, s57
	v_mac_f32_e32 v3, 0x4f800000, v11
	v_rcp_f32_e32 v3, v3
	v_mul_f32_e32 v3, 0x5f7ffffc, v3
	v_mul_f32_e32 v11, 0x2f800000, v3
	v_trunc_f32_e32 v11, v11
	v_mac_f32_e32 v3, 0xcf800000, v11
	v_cvt_u32_f32_e32 v11, v11
	v_cvt_u32_f32_e32 v3, v3
	v_readfirstlane_b32 s62, v11
	v_readfirstlane_b32 s0, v3
	s_mul_i32 s1, s55, s62
	s_mul_hi_u32 s64, s55, s0
	s_mul_i32 s63, s61, s0
	s_add_i32 s1, s64, s1
	s_add_i32 s1, s1, s63
	s_mul_i32 s65, s55, s0
	s_mul_i32 s64, s0, s1
	s_mul_hi_u32 s66, s0, s65
	s_mul_hi_u32 s63, s0, s1
	s_add_u32 s64, s66, s64
	s_addc_u32 s63, 0, s63
	s_mul_hi_u32 s67, s62, s65
	s_mul_i32 s65, s62, s65
	s_add_u32 s64, s64, s65
	s_mul_hi_u32 s66, s62, s1
	s_addc_u32 s63, s63, s67
	s_addc_u32 s64, s66, 0
	s_mul_i32 s1, s62, s1
	s_add_u32 s1, s63, s1
	s_addc_u32 s63, 0, s64
	s_add_u32 s64, s0, s1
	s_cselect_b64 s[0:1], -1, 0
	s_cmp_lg_u64 s[0:1], 0
	s_addc_u32 s62, s62, s63
	s_mul_i32 s0, s55, s62
	s_mul_hi_u32 s1, s55, s64
	s_add_i32 s0, s1, s0
	s_mul_i32 s61, s61, s64
	s_add_i32 s0, s0, s61
	s_mul_i32 s55, s55, s64
	s_mul_hi_u32 s61, s62, s55
	s_mul_i32 s63, s62, s55
	s_mul_i32 s66, s64, s0
	s_mul_hi_u32 s55, s64, s55
	s_mul_hi_u32 s65, s64, s0
	s_add_u32 s55, s55, s66
	s_addc_u32 s65, 0, s65
	s_add_u32 s55, s55, s63
	s_mul_hi_u32 s1, s62, s0
	s_addc_u32 s55, s65, s61
	s_addc_u32 s1, s1, 0
	s_mul_i32 s0, s62, s0
	s_add_u32 s0, s55, s0
	s_addc_u32 s55, 0, s1
	s_add_u32 s61, s64, s0
	s_cselect_b64 s[0:1], -1, 0
	s_cmp_lg_u64 s[0:1], 0
	v_add_co_u32_e32 v3, vcc, v15, v10
	s_addc_u32 s55, s62, s55
	v_xor_b32_e32 v3, v3, v10
	v_mad_u64_u32 v[11:12], s[0:1], v3, s55, 0
	v_mul_hi_u32 v16, v3, s61
	v_addc_co_u32_e32 v13, vcc, v14, v10, vcc
	v_xor_b32_e32 v13, v13, v10
	v_add_co_u32_e32 v18, vcc, v16, v11
	v_addc_co_u32_e32 v19, vcc, 0, v12, vcc
	v_mad_u64_u32 v[11:12], s[0:1], v13, s61, 0
	v_mad_u64_u32 v[16:17], s[0:1], v13, s55, 0
	v_add_co_u32_e32 v11, vcc, v18, v11
	v_addc_co_u32_e32 v11, vcc, v19, v12, vcc
	v_addc_co_u32_e32 v12, vcc, 0, v17, vcc
	v_add_co_u32_e32 v16, vcc, v11, v16
	v_addc_co_u32_e32 v17, vcc, 0, v12, vcc
	v_mul_lo_u32 v18, s57, v16
	v_mul_lo_u32 v19, s56, v17
	v_mad_u64_u32 v[11:12], s[0:1], s56, v16, 0
	v_xor_b32_e32 v10, s54, v10
	v_add3_u32 v12, v12, v19, v18
	v_sub_u32_e32 v18, v13, v12
	v_mov_b32_e32 v19, s57
	v_sub_co_u32_e32 v3, vcc, v3, v11
	v_subb_co_u32_e64 v11, s[0:1], v18, v19, vcc
	v_subrev_co_u32_e64 v18, s[0:1], s56, v3
	v_subbrev_co_u32_e64 v11, s[0:1], 0, v11, s[0:1]
	v_cmp_le_u32_e64 s[0:1], s57, v11
	v_cndmask_b32_e64 v19, 0, -1, s[0:1]
	v_cmp_le_u32_e64 s[0:1], s56, v18
	v_cndmask_b32_e64 v18, 0, -1, s[0:1]
	v_cmp_eq_u32_e64 s[0:1], s57, v11
	v_cndmask_b32_e64 v11, v19, v18, s[0:1]
	v_add_co_u32_e64 v18, s[0:1], 2, v16
	v_subb_co_u32_e32 v12, vcc, v13, v12, vcc
	v_addc_co_u32_e64 v19, s[0:1], 0, v17, s[0:1]
	v_cmp_le_u32_e32 vcc, s57, v12
	v_add_co_u32_e64 v20, s[0:1], 1, v16
	v_cndmask_b32_e64 v13, 0, -1, vcc
	v_cmp_le_u32_e32 vcc, s56, v3
	v_addc_co_u32_e64 v21, s[0:1], 0, v17, s[0:1]
	v_cndmask_b32_e64 v3, 0, -1, vcc
	v_cmp_eq_u32_e32 vcc, s57, v12
	v_cmp_ne_u32_e64 s[0:1], 0, v11
	v_cndmask_b32_e32 v3, v13, v3, vcc
	v_cndmask_b32_e64 v11, v21, v19, s[0:1]
	v_cmp_ne_u32_e32 vcc, 0, v3
	v_cndmask_b32_e32 v3, v17, v11, vcc
	v_cndmask_b32_e64 v11, v20, v18, s[0:1]
	v_cndmask_b32_e32 v11, v16, v11, vcc
	v_xor_b32_e32 v11, v11, v10
	v_xor_b32_e32 v3, v3, v10
	v_sub_co_u32_e32 v12, vcc, v11, v10
	v_subb_co_u32_e32 v13, vcc, v3, v10, vcc
.LBB2_13:                               ;   in Loop: Header=BB2_3 Depth=1
	s_andn2_saveexec_b64 s[0:1], s[2:3]
	s_cbranch_execz .LBB2_15
; %bb.14:                               ;   in Loop: Header=BB2_3 Depth=1
	v_cvt_f32_u32_e32 v3, s58
	s_sub_i32 s2, 0, s58
	v_mov_b32_e32 v13, v2
	v_rcp_iflag_f32_e32 v3, v3
	v_mul_f32_e32 v3, 0x4f7ffffe, v3
	v_cvt_u32_f32_e32 v3, v3
	v_mul_lo_u32 v10, s2, v3
	v_mul_hi_u32 v10, v3, v10
	v_add_u32_e32 v3, v3, v10
	v_mul_hi_u32 v3, v5, v3
	v_mul_lo_u32 v10, v3, s58
	v_add_u32_e32 v11, 1, v3
	v_sub_u32_e32 v10, v5, v10
	v_subrev_u32_e32 v12, s58, v10
	v_cmp_le_u32_e32 vcc, s58, v10
	v_cndmask_b32_e32 v10, v10, v12, vcc
	v_cndmask_b32_e32 v3, v3, v11, vcc
	v_add_u32_e32 v11, 1, v3
	v_cmp_le_u32_e32 vcc, s58, v10
	v_cndmask_b32_e32 v12, v3, v11, vcc
.LBB2_15:                               ;   in Loop: Header=BB2_3 Depth=1
	s_or_b64 exec, exec, s[0:1]
	v_or_b32_e32 v3, s15, v13
	v_cmp_ne_u64_e32 vcc, 0, v[2:3]
                                        ; implicit-def: $vgpr10_vgpr11
	s_and_saveexec_b64 s[0:1], vcc
	s_xor_b64 s[54:55], exec, s[0:1]
	s_cbranch_execz .LBB2_17
; %bb.16:                               ;   in Loop: Header=BB2_3 Depth=1
	s_ashr_i32 s0, s15, 31
	s_add_u32 s2, s14, s0
	s_mov_b32 s1, s0
	s_addc_u32 s3, s15, s0
	s_xor_b64 s[56:57], s[2:3], s[0:1]
	v_cvt_f32_u32_e32 v3, s56
	v_cvt_f32_u32_e32 v10, s57
	s_sub_u32 s2, 0, s56
	s_subb_u32 s3, 0, s57
	v_mac_f32_e32 v3, 0x4f800000, v10
	v_rcp_f32_e32 v3, v3
	v_mul_f32_e32 v3, 0x5f7ffffc, v3
	v_mul_f32_e32 v10, 0x2f800000, v3
	v_trunc_f32_e32 v10, v10
	v_mac_f32_e32 v3, 0xcf800000, v10
	v_cvt_u32_f32_e32 v10, v10
	v_cvt_u32_f32_e32 v3, v3
	v_readfirstlane_b32 s61, v10
	v_readfirstlane_b32 s0, v3
	s_mul_i32 s1, s2, s61
	s_mul_hi_u32 s63, s2, s0
	s_mul_i32 s62, s3, s0
	s_add_i32 s1, s63, s1
	s_add_i32 s1, s1, s62
	s_mul_i32 s64, s2, s0
	s_mul_i32 s63, s0, s1
	s_mul_hi_u32 s65, s0, s64
	s_mul_hi_u32 s62, s0, s1
	s_add_u32 s63, s65, s63
	s_addc_u32 s62, 0, s62
	s_mul_hi_u32 s66, s61, s64
	s_mul_i32 s64, s61, s64
	s_add_u32 s63, s63, s64
	s_mul_hi_u32 s65, s61, s1
	s_addc_u32 s62, s62, s66
	s_addc_u32 s63, s65, 0
	s_mul_i32 s1, s61, s1
	s_add_u32 s1, s62, s1
	s_addc_u32 s62, 0, s63
	s_add_u32 s63, s0, s1
	s_cselect_b64 s[0:1], -1, 0
	s_cmp_lg_u64 s[0:1], 0
	s_addc_u32 s61, s61, s62
	s_mul_i32 s0, s2, s61
	s_mul_hi_u32 s1, s2, s63
	s_add_i32 s0, s1, s0
	s_mul_i32 s3, s3, s63
	s_add_i32 s0, s0, s3
	s_mul_i32 s2, s2, s63
	s_mul_hi_u32 s3, s61, s2
	s_mul_i32 s62, s61, s2
	s_mul_i32 s65, s63, s0
	s_mul_hi_u32 s2, s63, s2
	s_mul_hi_u32 s64, s63, s0
	s_add_u32 s2, s2, s65
	s_addc_u32 s64, 0, s64
	s_add_u32 s2, s2, s62
	s_mul_hi_u32 s1, s61, s0
	s_addc_u32 s2, s64, s3
	s_addc_u32 s1, s1, 0
	s_mul_i32 s0, s61, s0
	s_add_u32 s0, s2, s0
	s_addc_u32 s2, 0, s1
	s_add_u32 s3, s63, s0
	s_cselect_b64 s[0:1], -1, 0
	v_ashrrev_i32_e32 v3, 31, v13
	s_cmp_lg_u64 s[0:1], 0
	v_add_co_u32_e32 v10, vcc, v12, v3
	s_addc_u32 s2, s61, s2
	v_xor_b32_e32 v16, v10, v3
	v_addc_co_u32_e32 v12, vcc, v13, v3, vcc
	v_mad_u64_u32 v[10:11], s[0:1], v16, s2, 0
	v_mul_hi_u32 v13, v16, s3
	v_xor_b32_e32 v17, v12, v3
	v_add_co_u32_e32 v18, vcc, v13, v10
	v_addc_co_u32_e32 v19, vcc, 0, v11, vcc
	v_mad_u64_u32 v[10:11], s[0:1], v17, s3, 0
	v_mad_u64_u32 v[12:13], s[0:1], v17, s2, 0
	v_add_co_u32_e32 v10, vcc, v18, v10
	v_addc_co_u32_e32 v10, vcc, v19, v11, vcc
	v_addc_co_u32_e32 v11, vcc, 0, v13, vcc
	v_add_co_u32_e32 v10, vcc, v10, v12
	v_addc_co_u32_e32 v11, vcc, 0, v11, vcc
	v_mul_lo_u32 v12, s57, v10
	v_mul_lo_u32 v13, s56, v11
	v_mad_u64_u32 v[10:11], s[0:1], s56, v10, 0
	v_add3_u32 v11, v11, v13, v12
	v_sub_u32_e32 v12, v17, v11
	v_mov_b32_e32 v13, s57
	v_sub_co_u32_e32 v10, vcc, v16, v10
	v_subb_co_u32_e64 v12, s[0:1], v12, v13, vcc
	v_subrev_co_u32_e64 v16, s[0:1], s56, v10
	v_subbrev_co_u32_e64 v18, s[2:3], 0, v12, s[0:1]
	v_cmp_le_u32_e64 s[2:3], s57, v18
	v_cndmask_b32_e64 v19, 0, -1, s[2:3]
	v_cmp_le_u32_e64 s[2:3], s56, v16
	v_subb_co_u32_e64 v12, s[0:1], v12, v13, s[0:1]
	v_cndmask_b32_e64 v20, 0, -1, s[2:3]
	v_cmp_eq_u32_e64 s[2:3], s57, v18
	v_subrev_co_u32_e64 v13, s[0:1], s56, v16
	v_subb_co_u32_e32 v11, vcc, v17, v11, vcc
	v_cndmask_b32_e64 v19, v19, v20, s[2:3]
	v_subbrev_co_u32_e64 v12, s[0:1], 0, v12, s[0:1]
	v_cmp_le_u32_e32 vcc, s57, v11
	v_cmp_ne_u32_e64 s[0:1], 0, v19
	v_cndmask_b32_e64 v17, 0, -1, vcc
	v_cmp_le_u32_e32 vcc, s56, v10
	v_cndmask_b32_e64 v12, v18, v12, s[0:1]
	v_cndmask_b32_e64 v18, 0, -1, vcc
	v_cmp_eq_u32_e32 vcc, s57, v11
	v_cndmask_b32_e32 v17, v17, v18, vcc
	v_cmp_ne_u32_e32 vcc, 0, v17
	v_cndmask_b32_e32 v11, v11, v12, vcc
	v_cndmask_b32_e64 v12, v16, v13, s[0:1]
	v_cndmask_b32_e32 v10, v10, v12, vcc
	v_xor_b32_e32 v10, v10, v3
	v_xor_b32_e32 v11, v11, v3
	v_sub_co_u32_e32 v10, vcc, v10, v3
	v_subb_co_u32_e32 v11, vcc, v11, v3, vcc
                                        ; implicit-def: $vgpr12_vgpr13
.LBB2_17:                               ;   in Loop: Header=BB2_3 Depth=1
	s_andn2_saveexec_b64 s[0:1], s[54:55]
	s_cbranch_execz .LBB2_19
; %bb.18:                               ;   in Loop: Header=BB2_3 Depth=1
	v_cvt_f32_u32_e32 v3, s14
	s_sub_i32 s2, 0, s14
	v_mov_b32_e32 v11, v2
	v_rcp_iflag_f32_e32 v3, v3
	v_mul_f32_e32 v3, 0x4f7ffffe, v3
	v_cvt_u32_f32_e32 v3, v3
	v_mul_lo_u32 v10, s2, v3
	v_mul_hi_u32 v10, v3, v10
	v_add_u32_e32 v3, v3, v10
	v_mul_hi_u32 v3, v12, v3
	v_mul_lo_u32 v3, v3, s14
	v_sub_u32_e32 v3, v12, v3
	v_subrev_u32_e32 v10, s14, v3
	v_cmp_le_u32_e32 vcc, s14, v3
	v_cndmask_b32_e32 v3, v3, v10, vcc
	v_subrev_u32_e32 v10, s14, v3
	v_cmp_le_u32_e32 vcc, s14, v3
	v_cndmask_b32_e32 v10, v3, v10, vcc
.LBB2_19:                               ;   in Loop: Header=BB2_3 Depth=1
	s_or_b64 exec, exec, s[0:1]
	v_mul_lo_u32 v3, v7, s8
	v_mul_lo_u32 v12, v6, s9
	v_mad_u64_u32 v[6:7], s[0:1], v6, s8, 0
	s_waitcnt lgkmcnt(0)
	v_mul_lo_u32 v16, s27, v8
	v_mul_lo_u32 v17, s26, v9
	v_add3_u32 v7, v7, v12, v3
	v_sub_co_u32_e32 v3, vcc, v15, v6
	v_subb_co_u32_e32 v12, vcc, v14, v7, vcc
	v_mul_lo_u32 v13, s25, v3
	v_mul_lo_u32 v14, s24, v12
	v_mad_u64_u32 v[6:7], s[0:1], s24, v3, 0
	v_mov_b32_e32 v15, s45
	v_add3_u32 v7, v7, v14, v13
	v_mad_u64_u32 v[13:14], s[0:1], s26, v8, 0
	v_lshlrev_b64 v[6:7], 3, v[6:7]
	v_add_co_u32_e32 v18, vcc, s44, v6
	v_add3_u32 v14, v14, v17, v16
	v_addc_co_u32_e32 v15, vcc, v15, v7, vcc
	v_lshlrev_b64 v[6:7], 3, v[13:14]
	v_mul_lo_u32 v16, s29, v10
	v_mul_lo_u32 v17, s28, v11
	v_mad_u64_u32 v[13:14], s[0:1], s28, v10, 0
	v_add_co_u32_e32 v18, vcc, v18, v6
	v_add3_u32 v14, v14, v17, v16
	v_addc_co_u32_e32 v15, vcc, v15, v7, vcc
	v_lshlrev_b64 v[6:7], 3, v[13:14]
	s_mov_b64 s[0:1], 0
	v_add_co_u32_e32 v6, vcc, v18, v6
	v_addc_co_u32_e32 v7, vcc, v15, v7, vcc
	global_load_dwordx2 v[6:7], v[6:7], off
	s_waitcnt vmcnt(0)
	v_cmp_ne_u64_e32 vcc, s[38:39], v[6:7]
	s_and_saveexec_b64 s[2:3], vcc
	s_xor_b64 s[2:3], exec, s[2:3]
	s_cbranch_execz .LBB2_26
; %bb.20:                               ;   in Loop: Header=BB2_3 Depth=1
	v_cmp_lt_i64_e32 vcc, -1, v[6:7]
	v_cmp_gt_i64_e64 s[0:1], s[10:11], v[6:7]
	s_mov_b64 s[54:55], 0
	s_and_b64 s[56:57], vcc, s[0:1]
	s_and_saveexec_b64 s[0:1], s[56:57]
	s_cbranch_execz .LBB2_25
; %bb.21:                               ;   in Loop: Header=BB2_3 Depth=1
	v_mul_lo_u32 v15, s17, v3
	v_mul_lo_u32 v16, s16, v12
	v_mad_u64_u32 v[13:14], s[54:55], s16, v3, 0
	v_mul_lo_u32 v18, s19, v6
	v_mul_lo_u32 v19, s18, v7
	v_add3_u32 v14, v14, v16, v15
	v_mad_u64_u32 v[15:16], s[54:55], s18, v6, 0
	v_lshlrev_b64 v[13:14], 1, v[13:14]
	v_mov_b32_e32 v17, s7
	v_add_co_u32_e32 v20, vcc, s6, v13
	v_add3_u32 v16, v16, v19, v18
	v_addc_co_u32_e32 v17, vcc, v17, v14, vcc
	v_lshlrev_b64 v[13:14], 1, v[15:16]
	v_mul_lo_u32 v18, s21, v8
	v_mul_lo_u32 v19, s20, v9
	v_mad_u64_u32 v[15:16], s[54:55], s20, v8, 0
	v_add_co_u32_e32 v20, vcc, v20, v13
	v_add3_u32 v16, v16, v19, v18
	v_addc_co_u32_e32 v17, vcc, v17, v14, vcc
	v_lshlrev_b64 v[13:14], 1, v[15:16]
	v_mul_lo_u32 v18, s23, v10
	v_mul_lo_u32 v19, s22, v11
	v_mad_u64_u32 v[15:16], s[54:55], s22, v10, 0
	v_add_co_u32_e32 v20, vcc, v20, v13
	v_add3_u32 v16, v16, v19, v18
	v_addc_co_u32_e32 v17, vcc, v17, v14, vcc
	v_lshlrev_b64 v[13:14], 1, v[15:16]
	v_add_co_u32_e32 v13, vcc, v20, v13
	v_addc_co_u32_e32 v14, vcc, v17, v14, vcc
	global_load_ushort v13, v[13:14], off
	s_andn2_b64 vcc, exec, s[48:49]
	s_cbranch_vccnz .LBB2_23
; %bb.22:                               ;   in Loop: Header=BB2_3 Depth=1
	v_lshlrev_b64 v[6:7], 1, v[6:7]
	v_mov_b32_e32 v14, s37
	v_add_co_u32_e32 v6, vcc, s36, v6
	v_addc_co_u32_e32 v7, vcc, v14, v7, vcc
	global_load_ushort v6, v[6:7], off
	s_branch .LBB2_24
.LBB2_23:                               ;   in Loop: Header=BB2_3 Depth=1
	v_mov_b32_e32 v6, 0x3c00
.LBB2_24:                               ;   in Loop: Header=BB2_3 Depth=1
	v_mul_lo_u32 v7, s41, v3
	v_mul_lo_u32 v12, s40, v12
	v_mad_u64_u32 v[14:15], s[56:57], s40, v3, 0
	s_waitcnt vmcnt(0)
	v_mul_f16_e64 v3, v6, -v13
	v_mul_lo_u32 v13, s43, v8
	v_add3_u32 v15, v15, v12, v7
	v_lshlrev_b64 v[6:7], 1, v[14:15]
	v_mul_lo_u32 v14, s42, v9
	v_mad_u64_u32 v[8:9], s[56:57], s42, v8, 0
	v_mov_b32_e32 v12, s31
	v_add_co_u32_e32 v15, vcc, s30, v6
	v_add3_u32 v9, v9, v14, v13
	v_addc_co_u32_e32 v12, vcc, v12, v7, vcc
	v_lshlrev_b64 v[6:7], 1, v[8:9]
	v_mul_lo_u32 v13, s51, v10
	v_mul_lo_u32 v11, s50, v11
	v_mad_u64_u32 v[8:9], s[56:57], s50, v10, 0
	v_add_co_u32_e32 v10, vcc, v15, v6
	v_add3_u32 v9, v9, v11, v13
	v_addc_co_u32_e32 v12, vcc, v12, v7, vcc
	v_lshlrev_b64 v[6:7], 1, v[8:9]
	s_mov_b64 s[54:55], exec
	v_add_co_u32_e32 v6, vcc, v10, v6
	v_addc_co_u32_e32 v7, vcc, v12, v7, vcc
	global_store_short v[6:7], v3, off
.LBB2_25:                               ;   in Loop: Header=BB2_3 Depth=1
	s_or_b64 exec, exec, s[0:1]
	s_and_b64 s[0:1], s[54:55], exec
                                        ; implicit-def: $vgpr3
                                        ; implicit-def: $vgpr12
                                        ; implicit-def: $vgpr8_vgpr9
                                        ; implicit-def: $vgpr10_vgpr11
.LBB2_26:                               ;   in Loop: Header=BB2_3 Depth=1
	s_andn2_saveexec_b64 s[2:3], s[2:3]
	s_cbranch_execz .LBB2_28
; %bb.27:                               ;   in Loop: Header=BB2_3 Depth=1
	v_mul_lo_u32 v13, s41, v3
	v_mul_lo_u32 v12, s40, v12
	v_mad_u64_u32 v[6:7], s[54:55], s40, v3, 0
	v_mov_b32_e32 v3, s31
	v_mul_lo_u32 v11, s50, v11
	v_add3_u32 v7, v7, v12, v13
	v_mul_lo_u32 v12, s43, v8
	v_mul_lo_u32 v13, s42, v9
	v_mad_u64_u32 v[8:9], s[54:55], s42, v8, 0
	v_lshlrev_b64 v[6:7], 1, v[6:7]
	s_or_b64 s[0:1], s[0:1], exec
	v_add_co_u32_e32 v14, vcc, s30, v6
	v_add3_u32 v9, v9, v13, v12
	v_addc_co_u32_e32 v3, vcc, v3, v7, vcc
	v_lshlrev_b64 v[6:7], 1, v[8:9]
	v_mul_lo_u32 v12, s51, v10
	v_mad_u64_u32 v[8:9], s[54:55], s50, v10, 0
	v_add_co_u32_e32 v10, vcc, v14, v6
	v_add3_u32 v9, v9, v11, v12
	v_addc_co_u32_e32 v3, vcc, v3, v7, vcc
	v_lshlrev_b64 v[6:7], 1, v[8:9]
	v_add_co_u32_e32 v6, vcc, v10, v6
	v_addc_co_u32_e32 v7, vcc, v3, v7, vcc
	global_store_short v[6:7], v2, off
.LBB2_28:                               ;   in Loop: Header=BB2_3 Depth=1
	s_or_b64 exec, exec, s[2:3]
	s_mov_b64 s[54:55], -1
	s_or_b64 s[52:53], s[52:53], exec
	s_and_saveexec_b64 s[2:3], s[0:1]
	s_cbranch_execz .LBB2_2
; %bb.29:                               ;   in Loop: Header=BB2_3 Depth=1
	v_add_co_u32_e32 v0, vcc, s59, v0
	v_addc_co_u32_e32 v1, vcc, 0, v1, vcc
	v_mov_b32_e32 v3, s60
	v_add_co_u32_e32 v4, vcc, 0, v4
	v_addc_co_u32_e32 v5, vcc, v5, v3, vcc
	v_cmp_le_i64_e32 vcc, s[34:35], v[0:1]
	s_andn2_b64 s[52:53], s[52:53], exec
	s_orn2_b64 s[54:55], vcc, exec
	s_branch .LBB2_2
.LBB2_30:
	s_or_b64 exec, exec, s[46:47]
	s_and_saveexec_b64 s[0:1], s[4:5]
	s_xor_b64 s[0:1], exec, s[0:1]
	s_cbranch_execnz .LBB2_32
.LBB2_31:
	s_endpgm
.LBB2_32:
	s_trap 2
	; divergent unreachable
	s_endpgm
	.section	.rodata,"a",@progbits
	.p2align	6, 0x0
	.amdhsa_kernel _ZN2at6native12_GLOBAL__N_135nll_loss2d_forward_no_reduce_kernelIN3c104HalfEEEvlN5torch10headeronly6detail27GenericPackedTensorAccessorINS7_14TensorAccessorINS3_8ArrayRefIlEET_Lm3ENS6_16DefaultPtrTraitsElEENS_6detail16IndexBoundsCheckILm4ElEESC_Lm4ESD_lEENS8_INS9_ISB_lLm2ESD_lEENSG_ILm3ElEElLm3ESD_lEENS8_INS9_ISB_SC_Lm2ESD_lEESK_SC_Lm3ESD_lEEPKSC_l
		.amdhsa_group_segment_fixed_size 0
		.amdhsa_private_segment_fixed_size 0
		.amdhsa_kernarg_size 464
		.amdhsa_user_sgpr_count 6
		.amdhsa_user_sgpr_private_segment_buffer 1
		.amdhsa_user_sgpr_dispatch_ptr 0
		.amdhsa_user_sgpr_queue_ptr 0
		.amdhsa_user_sgpr_kernarg_segment_ptr 1
		.amdhsa_user_sgpr_dispatch_id 0
		.amdhsa_user_sgpr_flat_scratch_init 0
		.amdhsa_user_sgpr_private_segment_size 0
		.amdhsa_uses_dynamic_stack 0
		.amdhsa_system_sgpr_private_segment_wavefront_offset 0
		.amdhsa_system_sgpr_workgroup_id_x 1
		.amdhsa_system_sgpr_workgroup_id_y 0
		.amdhsa_system_sgpr_workgroup_id_z 0
		.amdhsa_system_sgpr_workgroup_info 0
		.amdhsa_system_vgpr_workitem_id 0
		.amdhsa_next_free_vgpr 22
		.amdhsa_next_free_sgpr 68
		.amdhsa_reserve_vcc 1
		.amdhsa_reserve_flat_scratch 0
		.amdhsa_float_round_mode_32 0
		.amdhsa_float_round_mode_16_64 0
		.amdhsa_float_denorm_mode_32 3
		.amdhsa_float_denorm_mode_16_64 3
		.amdhsa_dx10_clamp 1
		.amdhsa_ieee_mode 1
		.amdhsa_fp16_overflow 0
		.amdhsa_exception_fp_ieee_invalid_op 0
		.amdhsa_exception_fp_denorm_src 0
		.amdhsa_exception_fp_ieee_div_zero 0
		.amdhsa_exception_fp_ieee_overflow 0
		.amdhsa_exception_fp_ieee_underflow 0
		.amdhsa_exception_fp_ieee_inexact 0
		.amdhsa_exception_int_div_zero 0
	.end_amdhsa_kernel
	.section	.text._ZN2at6native12_GLOBAL__N_135nll_loss2d_forward_no_reduce_kernelIN3c104HalfEEEvlN5torch10headeronly6detail27GenericPackedTensorAccessorINS7_14TensorAccessorINS3_8ArrayRefIlEET_Lm3ENS6_16DefaultPtrTraitsElEENS_6detail16IndexBoundsCheckILm4ElEESC_Lm4ESD_lEENS8_INS9_ISB_lLm2ESD_lEENSG_ILm3ElEElLm3ESD_lEENS8_INS9_ISB_SC_Lm2ESD_lEESK_SC_Lm3ESD_lEEPKSC_l,"axG",@progbits,_ZN2at6native12_GLOBAL__N_135nll_loss2d_forward_no_reduce_kernelIN3c104HalfEEEvlN5torch10headeronly6detail27GenericPackedTensorAccessorINS7_14TensorAccessorINS3_8ArrayRefIlEET_Lm3ENS6_16DefaultPtrTraitsElEENS_6detail16IndexBoundsCheckILm4ElEESC_Lm4ESD_lEENS8_INS9_ISB_lLm2ESD_lEENSG_ILm3ElEElLm3ESD_lEENS8_INS9_ISB_SC_Lm2ESD_lEESK_SC_Lm3ESD_lEEPKSC_l,comdat
.Lfunc_end2:
	.size	_ZN2at6native12_GLOBAL__N_135nll_loss2d_forward_no_reduce_kernelIN3c104HalfEEEvlN5torch10headeronly6detail27GenericPackedTensorAccessorINS7_14TensorAccessorINS3_8ArrayRefIlEET_Lm3ENS6_16DefaultPtrTraitsElEENS_6detail16IndexBoundsCheckILm4ElEESC_Lm4ESD_lEENS8_INS9_ISB_lLm2ESD_lEENSG_ILm3ElEElLm3ESD_lEENS8_INS9_ISB_SC_Lm2ESD_lEESK_SC_Lm3ESD_lEEPKSC_l, .Lfunc_end2-_ZN2at6native12_GLOBAL__N_135nll_loss2d_forward_no_reduce_kernelIN3c104HalfEEEvlN5torch10headeronly6detail27GenericPackedTensorAccessorINS7_14TensorAccessorINS3_8ArrayRefIlEET_Lm3ENS6_16DefaultPtrTraitsElEENS_6detail16IndexBoundsCheckILm4ElEESC_Lm4ESD_lEENS8_INS9_ISB_lLm2ESD_lEENSG_ILm3ElEElLm3ESD_lEENS8_INS9_ISB_SC_Lm2ESD_lEESK_SC_Lm3ESD_lEEPKSC_l
                                        ; -- End function
	.set _ZN2at6native12_GLOBAL__N_135nll_loss2d_forward_no_reduce_kernelIN3c104HalfEEEvlN5torch10headeronly6detail27GenericPackedTensorAccessorINS7_14TensorAccessorINS3_8ArrayRefIlEET_Lm3ENS6_16DefaultPtrTraitsElEENS_6detail16IndexBoundsCheckILm4ElEESC_Lm4ESD_lEENS8_INS9_ISB_lLm2ESD_lEENSG_ILm3ElEElLm3ESD_lEENS8_INS9_ISB_SC_Lm2ESD_lEESK_SC_Lm3ESD_lEEPKSC_l.num_vgpr, 22
	.set _ZN2at6native12_GLOBAL__N_135nll_loss2d_forward_no_reduce_kernelIN3c104HalfEEEvlN5torch10headeronly6detail27GenericPackedTensorAccessorINS7_14TensorAccessorINS3_8ArrayRefIlEET_Lm3ENS6_16DefaultPtrTraitsElEENS_6detail16IndexBoundsCheckILm4ElEESC_Lm4ESD_lEENS8_INS9_ISB_lLm2ESD_lEENSG_ILm3ElEElLm3ESD_lEENS8_INS9_ISB_SC_Lm2ESD_lEESK_SC_Lm3ESD_lEEPKSC_l.num_agpr, 0
	.set _ZN2at6native12_GLOBAL__N_135nll_loss2d_forward_no_reduce_kernelIN3c104HalfEEEvlN5torch10headeronly6detail27GenericPackedTensorAccessorINS7_14TensorAccessorINS3_8ArrayRefIlEET_Lm3ENS6_16DefaultPtrTraitsElEENS_6detail16IndexBoundsCheckILm4ElEESC_Lm4ESD_lEENS8_INS9_ISB_lLm2ESD_lEENSG_ILm3ElEElLm3ESD_lEENS8_INS9_ISB_SC_Lm2ESD_lEESK_SC_Lm3ESD_lEEPKSC_l.numbered_sgpr, 68
	.set _ZN2at6native12_GLOBAL__N_135nll_loss2d_forward_no_reduce_kernelIN3c104HalfEEEvlN5torch10headeronly6detail27GenericPackedTensorAccessorINS7_14TensorAccessorINS3_8ArrayRefIlEET_Lm3ENS6_16DefaultPtrTraitsElEENS_6detail16IndexBoundsCheckILm4ElEESC_Lm4ESD_lEENS8_INS9_ISB_lLm2ESD_lEENSG_ILm3ElEElLm3ESD_lEENS8_INS9_ISB_SC_Lm2ESD_lEESK_SC_Lm3ESD_lEEPKSC_l.num_named_barrier, 0
	.set _ZN2at6native12_GLOBAL__N_135nll_loss2d_forward_no_reduce_kernelIN3c104HalfEEEvlN5torch10headeronly6detail27GenericPackedTensorAccessorINS7_14TensorAccessorINS3_8ArrayRefIlEET_Lm3ENS6_16DefaultPtrTraitsElEENS_6detail16IndexBoundsCheckILm4ElEESC_Lm4ESD_lEENS8_INS9_ISB_lLm2ESD_lEENSG_ILm3ElEElLm3ESD_lEENS8_INS9_ISB_SC_Lm2ESD_lEESK_SC_Lm3ESD_lEEPKSC_l.private_seg_size, 0
	.set _ZN2at6native12_GLOBAL__N_135nll_loss2d_forward_no_reduce_kernelIN3c104HalfEEEvlN5torch10headeronly6detail27GenericPackedTensorAccessorINS7_14TensorAccessorINS3_8ArrayRefIlEET_Lm3ENS6_16DefaultPtrTraitsElEENS_6detail16IndexBoundsCheckILm4ElEESC_Lm4ESD_lEENS8_INS9_ISB_lLm2ESD_lEENSG_ILm3ElEElLm3ESD_lEENS8_INS9_ISB_SC_Lm2ESD_lEESK_SC_Lm3ESD_lEEPKSC_l.uses_vcc, 1
	.set _ZN2at6native12_GLOBAL__N_135nll_loss2d_forward_no_reduce_kernelIN3c104HalfEEEvlN5torch10headeronly6detail27GenericPackedTensorAccessorINS7_14TensorAccessorINS3_8ArrayRefIlEET_Lm3ENS6_16DefaultPtrTraitsElEENS_6detail16IndexBoundsCheckILm4ElEESC_Lm4ESD_lEENS8_INS9_ISB_lLm2ESD_lEENSG_ILm3ElEElLm3ESD_lEENS8_INS9_ISB_SC_Lm2ESD_lEESK_SC_Lm3ESD_lEEPKSC_l.uses_flat_scratch, 0
	.set _ZN2at6native12_GLOBAL__N_135nll_loss2d_forward_no_reduce_kernelIN3c104HalfEEEvlN5torch10headeronly6detail27GenericPackedTensorAccessorINS7_14TensorAccessorINS3_8ArrayRefIlEET_Lm3ENS6_16DefaultPtrTraitsElEENS_6detail16IndexBoundsCheckILm4ElEESC_Lm4ESD_lEENS8_INS9_ISB_lLm2ESD_lEENSG_ILm3ElEElLm3ESD_lEENS8_INS9_ISB_SC_Lm2ESD_lEESK_SC_Lm3ESD_lEEPKSC_l.has_dyn_sized_stack, 0
	.set _ZN2at6native12_GLOBAL__N_135nll_loss2d_forward_no_reduce_kernelIN3c104HalfEEEvlN5torch10headeronly6detail27GenericPackedTensorAccessorINS7_14TensorAccessorINS3_8ArrayRefIlEET_Lm3ENS6_16DefaultPtrTraitsElEENS_6detail16IndexBoundsCheckILm4ElEESC_Lm4ESD_lEENS8_INS9_ISB_lLm2ESD_lEENSG_ILm3ElEElLm3ESD_lEENS8_INS9_ISB_SC_Lm2ESD_lEESK_SC_Lm3ESD_lEEPKSC_l.has_recursion, 0
	.set _ZN2at6native12_GLOBAL__N_135nll_loss2d_forward_no_reduce_kernelIN3c104HalfEEEvlN5torch10headeronly6detail27GenericPackedTensorAccessorINS7_14TensorAccessorINS3_8ArrayRefIlEET_Lm3ENS6_16DefaultPtrTraitsElEENS_6detail16IndexBoundsCheckILm4ElEESC_Lm4ESD_lEENS8_INS9_ISB_lLm2ESD_lEENSG_ILm3ElEElLm3ESD_lEENS8_INS9_ISB_SC_Lm2ESD_lEESK_SC_Lm3ESD_lEEPKSC_l.has_indirect_call, 0
	.section	.AMDGPU.csdata,"",@progbits
; Kernel info:
; codeLenInByte = 4084
; TotalNumSgprs: 72
; NumVgprs: 22
; ScratchSize: 0
; MemoryBound: 0
; FloatMode: 240
; IeeeMode: 1
; LDSByteSize: 0 bytes/workgroup (compile time only)
; SGPRBlocks: 8
; VGPRBlocks: 5
; NumSGPRsForWavesPerEU: 72
; NumVGPRsForWavesPerEU: 22
; Occupancy: 10
; WaveLimiterHint : 1
; COMPUTE_PGM_RSRC2:SCRATCH_EN: 0
; COMPUTE_PGM_RSRC2:USER_SGPR: 6
; COMPUTE_PGM_RSRC2:TRAP_HANDLER: 0
; COMPUTE_PGM_RSRC2:TGID_X_EN: 1
; COMPUTE_PGM_RSRC2:TGID_Y_EN: 0
; COMPUTE_PGM_RSRC2:TGID_Z_EN: 0
; COMPUTE_PGM_RSRC2:TIDIG_COMP_CNT: 0
	.section	.text._ZN2at6native12_GLOBAL__N_135nll_loss2d_forward_no_reduce_kernelIN3c108BFloat16EEEvlN5torch10headeronly6detail27GenericPackedTensorAccessorINS7_14TensorAccessorINS3_8ArrayRefIlEET_Lm3ENS6_16DefaultPtrTraitsElEENS_6detail16IndexBoundsCheckILm4ElEESC_Lm4ESD_lEENS8_INS9_ISB_lLm2ESD_lEENSG_ILm3ElEElLm3ESD_lEENS8_INS9_ISB_SC_Lm2ESD_lEESK_SC_Lm3ESD_lEEPKSC_l,"axG",@progbits,_ZN2at6native12_GLOBAL__N_135nll_loss2d_forward_no_reduce_kernelIN3c108BFloat16EEEvlN5torch10headeronly6detail27GenericPackedTensorAccessorINS7_14TensorAccessorINS3_8ArrayRefIlEET_Lm3ENS6_16DefaultPtrTraitsElEENS_6detail16IndexBoundsCheckILm4ElEESC_Lm4ESD_lEENS8_INS9_ISB_lLm2ESD_lEENSG_ILm3ElEElLm3ESD_lEENS8_INS9_ISB_SC_Lm2ESD_lEESK_SC_Lm3ESD_lEEPKSC_l,comdat
	.globl	_ZN2at6native12_GLOBAL__N_135nll_loss2d_forward_no_reduce_kernelIN3c108BFloat16EEEvlN5torch10headeronly6detail27GenericPackedTensorAccessorINS7_14TensorAccessorINS3_8ArrayRefIlEET_Lm3ENS6_16DefaultPtrTraitsElEENS_6detail16IndexBoundsCheckILm4ElEESC_Lm4ESD_lEENS8_INS9_ISB_lLm2ESD_lEENSG_ILm3ElEElLm3ESD_lEENS8_INS9_ISB_SC_Lm2ESD_lEESK_SC_Lm3ESD_lEEPKSC_l ; -- Begin function _ZN2at6native12_GLOBAL__N_135nll_loss2d_forward_no_reduce_kernelIN3c108BFloat16EEEvlN5torch10headeronly6detail27GenericPackedTensorAccessorINS7_14TensorAccessorINS3_8ArrayRefIlEET_Lm3ENS6_16DefaultPtrTraitsElEENS_6detail16IndexBoundsCheckILm4ElEESC_Lm4ESD_lEENS8_INS9_ISB_lLm2ESD_lEENSG_ILm3ElEElLm3ESD_lEENS8_INS9_ISB_SC_Lm2ESD_lEESK_SC_Lm3ESD_lEEPKSC_l
	.p2align	8
	.type	_ZN2at6native12_GLOBAL__N_135nll_loss2d_forward_no_reduce_kernelIN3c108BFloat16EEEvlN5torch10headeronly6detail27GenericPackedTensorAccessorINS7_14TensorAccessorINS3_8ArrayRefIlEET_Lm3ENS6_16DefaultPtrTraitsElEENS_6detail16IndexBoundsCheckILm4ElEESC_Lm4ESD_lEENS8_INS9_ISB_lLm2ESD_lEENSG_ILm3ElEElLm3ESD_lEENS8_INS9_ISB_SC_Lm2ESD_lEESK_SC_Lm3ESD_lEEPKSC_l,@function
_ZN2at6native12_GLOBAL__N_135nll_loss2d_forward_no_reduce_kernelIN3c108BFloat16EEEvlN5torch10headeronly6detail27GenericPackedTensorAccessorINS7_14TensorAccessorINS3_8ArrayRefIlEET_Lm3ENS6_16DefaultPtrTraitsElEENS_6detail16IndexBoundsCheckILm4ElEESC_Lm4ESD_lEENS8_INS9_ISB_lLm2ESD_lEENSG_ILm3ElEElLm3ESD_lEENS8_INS9_ISB_SC_Lm2ESD_lEESK_SC_Lm3ESD_lEEPKSC_l: ; @_ZN2at6native12_GLOBAL__N_135nll_loss2d_forward_no_reduce_kernelIN3c108BFloat16EEEvlN5torch10headeronly6detail27GenericPackedTensorAccessorINS7_14TensorAccessorINS3_8ArrayRefIlEET_Lm3ENS6_16DefaultPtrTraitsElEENS_6detail16IndexBoundsCheckILm4ElEESC_Lm4ESD_lEENS8_INS9_ISB_lLm2ESD_lEENSG_ILm3ElEElLm3ESD_lEENS8_INS9_ISB_SC_Lm2ESD_lEESK_SC_Lm3ESD_lEEPKSC_l
; %bb.0:
	s_load_dword s2, s[4:5], 0xdc
	s_load_dwordx2 s[34:35], s[4:5], 0x0
	s_add_u32 s0, s4, 0xd0
	v_mov_b32_e32 v2, 0
	s_addc_u32 s1, s5, 0
	s_waitcnt lgkmcnt(0)
	s_and_b32 s2, s2, 0xffff
	v_mov_b32_e32 v1, v2
	v_mov_b32_e32 v3, s6
	v_mad_u64_u32 v[0:1], s[6:7], s2, v3, v[0:1]
	v_cmp_gt_i64_e32 vcc, s[34:35], v[0:1]
	s_and_saveexec_b64 s[6:7], vcc
	s_cbranch_execz .LBB3_29
; %bb.1:
	s_load_dwordx8 s[8:15], s[4:5], 0x10
	s_load_dwordx4 s[36:39], s[4:5], 0xc0
	s_load_dwordx2 s[6:7], s[4:5], 0x8
	s_load_dwordx8 s[16:23], s[4:5], 0x30
	s_load_dword s3, s[0:1], 0x0
	s_waitcnt lgkmcnt(0)
	s_mul_i32 s0, s12, s9
	s_mul_hi_u32 s1, s12, s8
	s_load_dwordx2 s[44:45], s[4:5], 0x50
	s_load_dwordx8 s[24:31], s[4:5], 0x70
	s_load_dwordx2 s[50:51], s[4:5], 0xb8
	s_load_dwordx4 s[40:43], s[4:5], 0xa8
	s_add_i32 s0, s1, s0
	s_mul_i32 s1, s13, s8
	s_add_i32 s33, s0, s1
	v_mov_b32_e32 v3, v0
	s_cmp_lg_u64 s[36:37], 0
	s_mul_i32 s59, s3, s2
	v_mov_b32_e32 v5, v3
	s_mul_i32 s58, s12, s8
	s_mov_b64 s[46:47], 0
	s_cselect_b64 s[48:49], -1, 0
	s_mov_b32 s60, s59
	s_movk_i32 s61, 0x7fff
	v_mov_b32_e32 v14, 0x7fc00000
	v_mov_b32_e32 v15, 0x7fc0
	;; [unrolled: 1-line block ×3, first 2 shown]
                                        ; implicit-def: $sgpr4_sgpr5
                                        ; implicit-def: $sgpr52_sgpr53
	s_branch .LBB3_3
.LBB3_2:                                ;   in Loop: Header=BB3_3 Depth=1
	s_or_b64 exec, exec, s[0:1]
	s_and_b64 s[0:1], exec, s[2:3]
	s_or_b64 s[46:47], s[0:1], s[46:47]
	s_andn2_b64 s[0:1], s[4:5], exec
	s_and_b64 s[2:3], s[52:53], exec
	s_or_b64 s[4:5], s[0:1], s[2:3]
	s_andn2_b64 exec, exec, s[46:47]
	s_cbranch_execz .LBB3_28
.LBB3_3:                                ; =>This Inner Loop Header: Depth=1
	v_ashrrev_i32_e32 v16, 31, v5
	v_or_b32_e32 v3, s9, v16
	v_cmp_ne_u64_e32 vcc, 0, v[2:3]
	v_mov_b32_e32 v17, v5
	v_ashrrev_i32_e32 v10, 31, v16
                                        ; implicit-def: $vgpr6_vgpr7
	s_and_saveexec_b64 s[0:1], vcc
	s_xor_b64 s[2:3], exec, s[0:1]
	s_cbranch_execz .LBB3_5
; %bb.4:                                ;   in Loop: Header=BB3_3 Depth=1
	s_ashr_i32 s54, s9, 31
	s_add_u32 s0, s8, s54
	s_mov_b32 s55, s54
	s_addc_u32 s1, s9, s54
	s_xor_b64 s[56:57], s[0:1], s[54:55]
	v_cvt_f32_u32_e32 v3, s56
	v_cvt_f32_u32_e32 v6, s57
	s_sub_u32 s55, 0, s56
	s_subb_u32 s62, 0, s57
	v_mac_f32_e32 v3, 0x4f800000, v6
	v_rcp_f32_e32 v3, v3
	v_mul_f32_e32 v3, 0x5f7ffffc, v3
	v_mul_f32_e32 v6, 0x2f800000, v3
	v_trunc_f32_e32 v6, v6
	v_mac_f32_e32 v3, 0xcf800000, v6
	v_cvt_u32_f32_e32 v6, v6
	v_cvt_u32_f32_e32 v3, v3
	v_readfirstlane_b32 s63, v6
	v_readfirstlane_b32 s0, v3
	s_mul_i32 s1, s55, s63
	s_mul_hi_u32 s65, s55, s0
	s_mul_i32 s64, s62, s0
	s_add_i32 s1, s65, s1
	s_add_i32 s1, s1, s64
	s_mul_i32 s66, s55, s0
	s_mul_i32 s65, s0, s1
	s_mul_hi_u32 s67, s0, s66
	s_mul_hi_u32 s64, s0, s1
	s_add_u32 s65, s67, s65
	s_addc_u32 s64, 0, s64
	s_mul_hi_u32 s68, s63, s66
	s_mul_i32 s66, s63, s66
	s_add_u32 s65, s65, s66
	s_mul_hi_u32 s67, s63, s1
	s_addc_u32 s64, s64, s68
	s_addc_u32 s65, s67, 0
	s_mul_i32 s1, s63, s1
	s_add_u32 s1, s64, s1
	s_addc_u32 s64, 0, s65
	s_add_u32 s65, s0, s1
	s_cselect_b64 s[0:1], -1, 0
	s_cmp_lg_u64 s[0:1], 0
	s_addc_u32 s63, s63, s64
	s_mul_i32 s0, s55, s63
	s_mul_hi_u32 s1, s55, s65
	s_add_i32 s0, s1, s0
	s_mul_i32 s62, s62, s65
	s_add_i32 s0, s0, s62
	s_mul_i32 s55, s55, s65
	s_mul_hi_u32 s62, s63, s55
	s_mul_i32 s64, s63, s55
	s_mul_i32 s67, s65, s0
	s_mul_hi_u32 s55, s65, s55
	s_mul_hi_u32 s66, s65, s0
	s_add_u32 s55, s55, s67
	s_addc_u32 s66, 0, s66
	s_add_u32 s55, s55, s64
	s_mul_hi_u32 s1, s63, s0
	s_addc_u32 s55, s66, s62
	s_addc_u32 s1, s1, 0
	s_mul_i32 s0, s63, s0
	s_add_u32 s0, s55, s0
	s_addc_u32 s55, 0, s1
	s_add_u32 s62, s65, s0
	s_cselect_b64 s[0:1], -1, 0
	s_cmp_lg_u64 s[0:1], 0
	v_add_co_u32_e32 v3, vcc, v17, v10
	s_addc_u32 s55, s63, s55
	v_xor_b32_e32 v3, v3, v10
	v_mad_u64_u32 v[6:7], s[0:1], v3, s55, 0
	v_mul_hi_u32 v9, v3, s62
	v_addc_co_u32_e32 v8, vcc, v16, v10, vcc
	v_xor_b32_e32 v11, v8, v10
	v_add_co_u32_e32 v12, vcc, v9, v6
	v_addc_co_u32_e32 v13, vcc, 0, v7, vcc
	v_mad_u64_u32 v[6:7], s[0:1], v11, s62, 0
	v_mad_u64_u32 v[8:9], s[0:1], v11, s55, 0
	v_add_co_u32_e32 v6, vcc, v12, v6
	v_addc_co_u32_e32 v6, vcc, v13, v7, vcc
	v_addc_co_u32_e32 v7, vcc, 0, v9, vcc
	v_add_co_u32_e32 v8, vcc, v6, v8
	v_addc_co_u32_e32 v9, vcc, 0, v7, vcc
	v_mul_lo_u32 v12, s57, v8
	v_mul_lo_u32 v13, s56, v9
	v_mad_u64_u32 v[6:7], s[0:1], s56, v8, 0
	v_add3_u32 v7, v7, v13, v12
	v_sub_u32_e32 v12, v11, v7
	v_mov_b32_e32 v13, s57
	v_sub_co_u32_e32 v3, vcc, v3, v6
	v_subb_co_u32_e64 v6, s[0:1], v12, v13, vcc
	v_subrev_co_u32_e64 v12, s[0:1], s56, v3
	v_subbrev_co_u32_e64 v6, s[0:1], 0, v6, s[0:1]
	v_cmp_le_u32_e64 s[0:1], s57, v6
	v_cndmask_b32_e64 v13, 0, -1, s[0:1]
	v_cmp_le_u32_e64 s[0:1], s56, v12
	v_cndmask_b32_e64 v12, 0, -1, s[0:1]
	v_cmp_eq_u32_e64 s[0:1], s57, v6
	v_cndmask_b32_e64 v6, v13, v12, s[0:1]
	v_add_co_u32_e64 v12, s[0:1], 2, v8
	v_subb_co_u32_e32 v7, vcc, v11, v7, vcc
	v_addc_co_u32_e64 v13, s[0:1], 0, v9, s[0:1]
	v_cmp_le_u32_e32 vcc, s57, v7
	v_add_co_u32_e64 v18, s[0:1], 1, v8
	v_cndmask_b32_e64 v11, 0, -1, vcc
	v_cmp_le_u32_e32 vcc, s56, v3
	v_addc_co_u32_e64 v19, s[0:1], 0, v9, s[0:1]
	v_cndmask_b32_e64 v3, 0, -1, vcc
	v_cmp_eq_u32_e32 vcc, s57, v7
	v_cmp_ne_u32_e64 s[0:1], 0, v6
	v_cndmask_b32_e32 v3, v11, v3, vcc
	v_cndmask_b32_e64 v6, v19, v13, s[0:1]
	v_cmp_ne_u32_e32 vcc, 0, v3
	v_cndmask_b32_e32 v3, v9, v6, vcc
	v_cndmask_b32_e64 v6, v18, v12, s[0:1]
	v_cndmask_b32_e32 v6, v8, v6, vcc
	v_xor_b32_e32 v7, s54, v10
	v_xor_b32_e32 v6, v6, v7
	v_xor_b32_e32 v3, v3, v7
	v_sub_co_u32_e32 v6, vcc, v6, v7
	v_subb_co_u32_e32 v7, vcc, v3, v7, vcc
.LBB3_5:                                ;   in Loop: Header=BB3_3 Depth=1
	s_andn2_saveexec_b64 s[0:1], s[2:3]
	s_cbranch_execz .LBB3_7
; %bb.6:                                ;   in Loop: Header=BB3_3 Depth=1
	v_cvt_f32_u32_e32 v3, s8
	s_sub_i32 s2, 0, s8
	v_rcp_iflag_f32_e32 v3, v3
	v_mul_f32_e32 v3, 0x4f7ffffe, v3
	v_cvt_u32_f32_e32 v3, v3
	v_mul_lo_u32 v6, s2, v3
	v_mul_hi_u32 v6, v3, v6
	v_add_u32_e32 v3, v3, v6
	v_mul_hi_u32 v3, v17, v3
	v_mul_lo_u32 v6, v3, s8
	v_add_u32_e32 v7, 1, v3
	v_sub_u32_e32 v6, v17, v6
	v_subrev_u32_e32 v8, s8, v6
	v_cmp_le_u32_e32 vcc, s8, v6
	v_cndmask_b32_e32 v6, v6, v8, vcc
	v_cndmask_b32_e32 v3, v3, v7, vcc
	v_add_u32_e32 v7, 1, v3
	v_cmp_le_u32_e32 vcc, s8, v6
	v_cndmask_b32_e32 v6, v3, v7, vcc
	v_mov_b32_e32 v7, v2
.LBB3_7:                                ;   in Loop: Header=BB3_3 Depth=1
	s_or_b64 exec, exec, s[0:1]
	v_or_b32_e32 v3, s13, v7
	v_cmp_ne_u64_e32 vcc, 0, v[2:3]
                                        ; implicit-def: $vgpr8_vgpr9
	s_and_saveexec_b64 s[0:1], vcc
	s_xor_b64 s[54:55], exec, s[0:1]
	s_cbranch_execz .LBB3_9
; %bb.8:                                ;   in Loop: Header=BB3_3 Depth=1
	s_ashr_i32 s0, s13, 31
	s_add_u32 s2, s12, s0
	s_mov_b32 s1, s0
	s_addc_u32 s3, s13, s0
	s_xor_b64 s[56:57], s[2:3], s[0:1]
	v_cvt_f32_u32_e32 v3, s56
	v_cvt_f32_u32_e32 v8, s57
	s_sub_u32 s2, 0, s56
	s_subb_u32 s3, 0, s57
	v_mac_f32_e32 v3, 0x4f800000, v8
	v_rcp_f32_e32 v3, v3
	v_mul_f32_e32 v3, 0x5f7ffffc, v3
	v_mul_f32_e32 v8, 0x2f800000, v3
	v_trunc_f32_e32 v8, v8
	v_mac_f32_e32 v3, 0xcf800000, v8
	v_cvt_u32_f32_e32 v8, v8
	v_cvt_u32_f32_e32 v3, v3
	v_readfirstlane_b32 s62, v8
	v_readfirstlane_b32 s0, v3
	s_mul_i32 s1, s2, s62
	s_mul_hi_u32 s64, s2, s0
	s_mul_i32 s63, s3, s0
	s_add_i32 s1, s64, s1
	s_add_i32 s1, s1, s63
	s_mul_i32 s65, s2, s0
	s_mul_i32 s64, s0, s1
	s_mul_hi_u32 s66, s0, s65
	s_mul_hi_u32 s63, s0, s1
	s_add_u32 s64, s66, s64
	s_addc_u32 s63, 0, s63
	s_mul_hi_u32 s67, s62, s65
	s_mul_i32 s65, s62, s65
	s_add_u32 s64, s64, s65
	s_mul_hi_u32 s66, s62, s1
	s_addc_u32 s63, s63, s67
	s_addc_u32 s64, s66, 0
	s_mul_i32 s1, s62, s1
	s_add_u32 s1, s63, s1
	s_addc_u32 s63, 0, s64
	s_add_u32 s64, s0, s1
	s_cselect_b64 s[0:1], -1, 0
	s_cmp_lg_u64 s[0:1], 0
	s_addc_u32 s62, s62, s63
	s_mul_i32 s0, s2, s62
	s_mul_hi_u32 s1, s2, s64
	s_add_i32 s0, s1, s0
	s_mul_i32 s3, s3, s64
	s_add_i32 s0, s0, s3
	s_mul_i32 s2, s2, s64
	s_mul_hi_u32 s3, s62, s2
	s_mul_i32 s63, s62, s2
	s_mul_i32 s66, s64, s0
	s_mul_hi_u32 s2, s64, s2
	s_mul_hi_u32 s65, s64, s0
	s_add_u32 s2, s2, s66
	s_addc_u32 s65, 0, s65
	s_add_u32 s2, s2, s63
	s_mul_hi_u32 s1, s62, s0
	s_addc_u32 s2, s65, s3
	s_addc_u32 s1, s1, 0
	s_mul_i32 s0, s62, s0
	s_add_u32 s0, s2, s0
	s_addc_u32 s2, 0, s1
	s_add_u32 s3, s64, s0
	s_cselect_b64 s[0:1], -1, 0
	v_ashrrev_i32_e32 v3, 31, v7
	s_cmp_lg_u64 s[0:1], 0
	v_add_co_u32_e32 v8, vcc, v6, v3
	s_addc_u32 s2, s62, s2
	v_xor_b32_e32 v13, v8, v3
	v_mad_u64_u32 v[8:9], s[0:1], v13, s2, 0
	v_mul_hi_u32 v12, v13, s3
	v_addc_co_u32_e32 v11, vcc, v7, v3, vcc
	v_xor_b32_e32 v18, v11, v3
	v_add_co_u32_e32 v19, vcc, v12, v8
	v_addc_co_u32_e32 v20, vcc, 0, v9, vcc
	v_mad_u64_u32 v[8:9], s[0:1], v18, s3, 0
	v_mad_u64_u32 v[11:12], s[0:1], v18, s2, 0
	v_add_co_u32_e32 v8, vcc, v19, v8
	v_addc_co_u32_e32 v8, vcc, v20, v9, vcc
	v_addc_co_u32_e32 v9, vcc, 0, v12, vcc
	v_add_co_u32_e32 v8, vcc, v8, v11
	v_addc_co_u32_e32 v9, vcc, 0, v9, vcc
	v_mul_lo_u32 v11, s57, v8
	v_mul_lo_u32 v12, s56, v9
	v_mad_u64_u32 v[8:9], s[0:1], s56, v8, 0
	v_add3_u32 v9, v9, v12, v11
	v_sub_u32_e32 v11, v18, v9
	v_mov_b32_e32 v12, s57
	v_sub_co_u32_e32 v8, vcc, v13, v8
	v_subb_co_u32_e64 v11, s[0:1], v11, v12, vcc
	v_subrev_co_u32_e64 v13, s[0:1], s56, v8
	v_subbrev_co_u32_e64 v19, s[2:3], 0, v11, s[0:1]
	v_cmp_le_u32_e64 s[2:3], s57, v19
	v_cndmask_b32_e64 v20, 0, -1, s[2:3]
	v_cmp_le_u32_e64 s[2:3], s56, v13
	v_subb_co_u32_e64 v11, s[0:1], v11, v12, s[0:1]
	v_cndmask_b32_e64 v21, 0, -1, s[2:3]
	v_cmp_eq_u32_e64 s[2:3], s57, v19
	v_subrev_co_u32_e64 v12, s[0:1], s56, v13
	v_subb_co_u32_e32 v9, vcc, v18, v9, vcc
	v_cndmask_b32_e64 v20, v20, v21, s[2:3]
	v_subbrev_co_u32_e64 v11, s[0:1], 0, v11, s[0:1]
	v_cmp_le_u32_e32 vcc, s57, v9
	v_cmp_ne_u32_e64 s[0:1], 0, v20
	v_cndmask_b32_e64 v18, 0, -1, vcc
	v_cmp_le_u32_e32 vcc, s56, v8
	v_cndmask_b32_e64 v11, v19, v11, s[0:1]
	v_cndmask_b32_e64 v19, 0, -1, vcc
	v_cmp_eq_u32_e32 vcc, s57, v9
	v_cndmask_b32_e32 v18, v18, v19, vcc
	v_cmp_ne_u32_e32 vcc, 0, v18
	v_cndmask_b32_e32 v9, v9, v11, vcc
	v_cndmask_b32_e64 v11, v13, v12, s[0:1]
	v_cndmask_b32_e32 v8, v8, v11, vcc
	v_xor_b32_e32 v8, v8, v3
	v_xor_b32_e32 v9, v9, v3
	v_sub_co_u32_e32 v8, vcc, v8, v3
	v_subb_co_u32_e32 v9, vcc, v9, v3, vcc
.LBB3_9:                                ;   in Loop: Header=BB3_3 Depth=1
	s_andn2_saveexec_b64 s[0:1], s[54:55]
	s_cbranch_execz .LBB3_11
; %bb.10:                               ;   in Loop: Header=BB3_3 Depth=1
	v_cvt_f32_u32_e32 v3, s12
	s_sub_i32 s2, 0, s12
	v_mov_b32_e32 v9, v2
	v_rcp_iflag_f32_e32 v3, v3
	v_mul_f32_e32 v3, 0x4f7ffffe, v3
	v_cvt_u32_f32_e32 v3, v3
	v_mul_lo_u32 v8, s2, v3
	v_mul_hi_u32 v8, v3, v8
	v_add_u32_e32 v3, v3, v8
	v_mul_hi_u32 v3, v6, v3
	v_mul_lo_u32 v3, v3, s12
	v_sub_u32_e32 v3, v6, v3
	v_subrev_u32_e32 v8, s12, v3
	v_cmp_le_u32_e32 vcc, s12, v3
	v_cndmask_b32_e32 v3, v3, v8, vcc
	v_subrev_u32_e32 v8, s12, v3
	v_cmp_le_u32_e32 vcc, s12, v3
	v_cndmask_b32_e32 v8, v3, v8, vcc
.LBB3_11:                               ;   in Loop: Header=BB3_3 Depth=1
	s_or_b64 exec, exec, s[0:1]
	v_or_b32_e32 v3, s33, v16
	v_cmp_ne_u64_e32 vcc, 0, v[2:3]
                                        ; implicit-def: $vgpr12_vgpr13
	s_and_saveexec_b64 s[0:1], vcc
	s_xor_b64 s[2:3], exec, s[0:1]
	s_cbranch_execz .LBB3_13
; %bb.12:                               ;   in Loop: Header=BB3_3 Depth=1
	s_ashr_i32 s54, s33, 31
	s_add_u32 s0, s58, s54
	s_mov_b32 s55, s54
	s_addc_u32 s1, s33, s54
	s_xor_b64 s[56:57], s[0:1], s[54:55]
	v_cvt_f32_u32_e32 v3, s56
	v_cvt_f32_u32_e32 v11, s57
	s_sub_u32 s55, 0, s56
	s_subb_u32 s62, 0, s57
	v_mac_f32_e32 v3, 0x4f800000, v11
	v_rcp_f32_e32 v3, v3
	v_mul_f32_e32 v3, 0x5f7ffffc, v3
	v_mul_f32_e32 v11, 0x2f800000, v3
	v_trunc_f32_e32 v11, v11
	v_mac_f32_e32 v3, 0xcf800000, v11
	v_cvt_u32_f32_e32 v11, v11
	v_cvt_u32_f32_e32 v3, v3
	v_readfirstlane_b32 s63, v11
	v_readfirstlane_b32 s0, v3
	s_mul_i32 s1, s55, s63
	s_mul_hi_u32 s65, s55, s0
	s_mul_i32 s64, s62, s0
	s_add_i32 s1, s65, s1
	s_add_i32 s1, s1, s64
	s_mul_i32 s66, s55, s0
	s_mul_i32 s65, s0, s1
	s_mul_hi_u32 s67, s0, s66
	s_mul_hi_u32 s64, s0, s1
	s_add_u32 s65, s67, s65
	s_addc_u32 s64, 0, s64
	s_mul_hi_u32 s68, s63, s66
	s_mul_i32 s66, s63, s66
	s_add_u32 s65, s65, s66
	s_mul_hi_u32 s67, s63, s1
	s_addc_u32 s64, s64, s68
	s_addc_u32 s65, s67, 0
	s_mul_i32 s1, s63, s1
	s_add_u32 s1, s64, s1
	s_addc_u32 s64, 0, s65
	s_add_u32 s65, s0, s1
	s_cselect_b64 s[0:1], -1, 0
	s_cmp_lg_u64 s[0:1], 0
	s_addc_u32 s63, s63, s64
	s_mul_i32 s0, s55, s63
	s_mul_hi_u32 s1, s55, s65
	s_add_i32 s0, s1, s0
	s_mul_i32 s62, s62, s65
	s_add_i32 s0, s0, s62
	s_mul_i32 s55, s55, s65
	s_mul_hi_u32 s62, s63, s55
	s_mul_i32 s64, s63, s55
	s_mul_i32 s67, s65, s0
	s_mul_hi_u32 s55, s65, s55
	s_mul_hi_u32 s66, s65, s0
	s_add_u32 s55, s55, s67
	s_addc_u32 s66, 0, s66
	s_add_u32 s55, s55, s64
	s_mul_hi_u32 s1, s63, s0
	s_addc_u32 s55, s66, s62
	s_addc_u32 s1, s1, 0
	s_mul_i32 s0, s63, s0
	s_add_u32 s0, s55, s0
	s_addc_u32 s55, 0, s1
	s_add_u32 s62, s65, s0
	s_cselect_b64 s[0:1], -1, 0
	s_cmp_lg_u64 s[0:1], 0
	v_add_co_u32_e32 v3, vcc, v17, v10
	s_addc_u32 s55, s63, s55
	v_xor_b32_e32 v3, v3, v10
	v_mad_u64_u32 v[11:12], s[0:1], v3, s55, 0
	v_mul_hi_u32 v18, v3, s62
	v_addc_co_u32_e32 v13, vcc, v16, v10, vcc
	v_xor_b32_e32 v13, v13, v10
	v_add_co_u32_e32 v20, vcc, v18, v11
	v_addc_co_u32_e32 v21, vcc, 0, v12, vcc
	v_mad_u64_u32 v[11:12], s[0:1], v13, s62, 0
	v_mad_u64_u32 v[18:19], s[0:1], v13, s55, 0
	v_add_co_u32_e32 v11, vcc, v20, v11
	v_addc_co_u32_e32 v11, vcc, v21, v12, vcc
	v_addc_co_u32_e32 v12, vcc, 0, v19, vcc
	v_add_co_u32_e32 v18, vcc, v11, v18
	v_addc_co_u32_e32 v19, vcc, 0, v12, vcc
	v_mul_lo_u32 v20, s57, v18
	v_mul_lo_u32 v21, s56, v19
	v_mad_u64_u32 v[11:12], s[0:1], s56, v18, 0
	v_xor_b32_e32 v10, s54, v10
	v_add3_u32 v12, v12, v21, v20
	v_sub_u32_e32 v20, v13, v12
	v_mov_b32_e32 v21, s57
	v_sub_co_u32_e32 v3, vcc, v3, v11
	v_subb_co_u32_e64 v11, s[0:1], v20, v21, vcc
	v_subrev_co_u32_e64 v20, s[0:1], s56, v3
	v_subbrev_co_u32_e64 v11, s[0:1], 0, v11, s[0:1]
	v_cmp_le_u32_e64 s[0:1], s57, v11
	v_cndmask_b32_e64 v21, 0, -1, s[0:1]
	v_cmp_le_u32_e64 s[0:1], s56, v20
	v_cndmask_b32_e64 v20, 0, -1, s[0:1]
	v_cmp_eq_u32_e64 s[0:1], s57, v11
	v_cndmask_b32_e64 v11, v21, v20, s[0:1]
	v_add_co_u32_e64 v20, s[0:1], 2, v18
	v_subb_co_u32_e32 v12, vcc, v13, v12, vcc
	v_addc_co_u32_e64 v21, s[0:1], 0, v19, s[0:1]
	v_cmp_le_u32_e32 vcc, s57, v12
	v_add_co_u32_e64 v22, s[0:1], 1, v18
	v_cndmask_b32_e64 v13, 0, -1, vcc
	v_cmp_le_u32_e32 vcc, s56, v3
	v_addc_co_u32_e64 v23, s[0:1], 0, v19, s[0:1]
	v_cndmask_b32_e64 v3, 0, -1, vcc
	v_cmp_eq_u32_e32 vcc, s57, v12
	v_cmp_ne_u32_e64 s[0:1], 0, v11
	v_cndmask_b32_e32 v3, v13, v3, vcc
	v_cndmask_b32_e64 v11, v23, v21, s[0:1]
	v_cmp_ne_u32_e32 vcc, 0, v3
	v_cndmask_b32_e32 v3, v19, v11, vcc
	v_cndmask_b32_e64 v11, v22, v20, s[0:1]
	v_cndmask_b32_e32 v11, v18, v11, vcc
	v_xor_b32_e32 v11, v11, v10
	v_xor_b32_e32 v3, v3, v10
	v_sub_co_u32_e32 v12, vcc, v11, v10
	v_subb_co_u32_e32 v13, vcc, v3, v10, vcc
.LBB3_13:                               ;   in Loop: Header=BB3_3 Depth=1
	s_andn2_saveexec_b64 s[0:1], s[2:3]
	s_cbranch_execz .LBB3_15
; %bb.14:                               ;   in Loop: Header=BB3_3 Depth=1
	v_cvt_f32_u32_e32 v3, s58
	s_sub_i32 s2, 0, s58
	v_mov_b32_e32 v13, v2
	v_rcp_iflag_f32_e32 v3, v3
	v_mul_f32_e32 v3, 0x4f7ffffe, v3
	v_cvt_u32_f32_e32 v3, v3
	v_mul_lo_u32 v10, s2, v3
	v_mul_hi_u32 v10, v3, v10
	v_add_u32_e32 v3, v3, v10
	v_mul_hi_u32 v3, v5, v3
	v_mul_lo_u32 v10, v3, s58
	v_add_u32_e32 v11, 1, v3
	v_sub_u32_e32 v10, v5, v10
	v_subrev_u32_e32 v12, s58, v10
	v_cmp_le_u32_e32 vcc, s58, v10
	v_cndmask_b32_e32 v10, v10, v12, vcc
	v_cndmask_b32_e32 v3, v3, v11, vcc
	v_add_u32_e32 v11, 1, v3
	v_cmp_le_u32_e32 vcc, s58, v10
	v_cndmask_b32_e32 v12, v3, v11, vcc
.LBB3_15:                               ;   in Loop: Header=BB3_3 Depth=1
	s_or_b64 exec, exec, s[0:1]
	v_or_b32_e32 v3, s15, v13
	v_cmp_ne_u64_e32 vcc, 0, v[2:3]
                                        ; implicit-def: $vgpr10_vgpr11
	s_and_saveexec_b64 s[0:1], vcc
	s_xor_b64 s[54:55], exec, s[0:1]
	s_cbranch_execz .LBB3_17
; %bb.16:                               ;   in Loop: Header=BB3_3 Depth=1
	s_ashr_i32 s0, s15, 31
	s_add_u32 s2, s14, s0
	s_mov_b32 s1, s0
	s_addc_u32 s3, s15, s0
	s_xor_b64 s[56:57], s[2:3], s[0:1]
	v_cvt_f32_u32_e32 v3, s56
	v_cvt_f32_u32_e32 v10, s57
	s_sub_u32 s2, 0, s56
	s_subb_u32 s3, 0, s57
	v_mac_f32_e32 v3, 0x4f800000, v10
	v_rcp_f32_e32 v3, v3
	v_mul_f32_e32 v3, 0x5f7ffffc, v3
	v_mul_f32_e32 v10, 0x2f800000, v3
	v_trunc_f32_e32 v10, v10
	v_mac_f32_e32 v3, 0xcf800000, v10
	v_cvt_u32_f32_e32 v10, v10
	v_cvt_u32_f32_e32 v3, v3
	v_readfirstlane_b32 s62, v10
	v_readfirstlane_b32 s0, v3
	s_mul_i32 s1, s2, s62
	s_mul_hi_u32 s64, s2, s0
	s_mul_i32 s63, s3, s0
	s_add_i32 s1, s64, s1
	s_add_i32 s1, s1, s63
	s_mul_i32 s65, s2, s0
	s_mul_i32 s64, s0, s1
	s_mul_hi_u32 s66, s0, s65
	s_mul_hi_u32 s63, s0, s1
	s_add_u32 s64, s66, s64
	s_addc_u32 s63, 0, s63
	s_mul_hi_u32 s67, s62, s65
	s_mul_i32 s65, s62, s65
	s_add_u32 s64, s64, s65
	s_mul_hi_u32 s66, s62, s1
	s_addc_u32 s63, s63, s67
	s_addc_u32 s64, s66, 0
	s_mul_i32 s1, s62, s1
	s_add_u32 s1, s63, s1
	s_addc_u32 s63, 0, s64
	s_add_u32 s64, s0, s1
	s_cselect_b64 s[0:1], -1, 0
	s_cmp_lg_u64 s[0:1], 0
	s_addc_u32 s62, s62, s63
	s_mul_i32 s0, s2, s62
	s_mul_hi_u32 s1, s2, s64
	s_add_i32 s0, s1, s0
	s_mul_i32 s3, s3, s64
	s_add_i32 s0, s0, s3
	s_mul_i32 s2, s2, s64
	s_mul_hi_u32 s3, s62, s2
	s_mul_i32 s63, s62, s2
	s_mul_i32 s66, s64, s0
	s_mul_hi_u32 s2, s64, s2
	s_mul_hi_u32 s65, s64, s0
	s_add_u32 s2, s2, s66
	s_addc_u32 s65, 0, s65
	s_add_u32 s2, s2, s63
	s_mul_hi_u32 s1, s62, s0
	s_addc_u32 s2, s65, s3
	s_addc_u32 s1, s1, 0
	s_mul_i32 s0, s62, s0
	s_add_u32 s0, s2, s0
	s_addc_u32 s2, 0, s1
	s_add_u32 s3, s64, s0
	s_cselect_b64 s[0:1], -1, 0
	v_ashrrev_i32_e32 v3, 31, v13
	s_cmp_lg_u64 s[0:1], 0
	v_add_co_u32_e32 v10, vcc, v12, v3
	s_addc_u32 s2, s62, s2
	v_xor_b32_e32 v18, v10, v3
	v_addc_co_u32_e32 v12, vcc, v13, v3, vcc
	v_mad_u64_u32 v[10:11], s[0:1], v18, s2, 0
	v_mul_hi_u32 v13, v18, s3
	v_xor_b32_e32 v19, v12, v3
	v_add_co_u32_e32 v20, vcc, v13, v10
	v_addc_co_u32_e32 v21, vcc, 0, v11, vcc
	v_mad_u64_u32 v[10:11], s[0:1], v19, s3, 0
	v_mad_u64_u32 v[12:13], s[0:1], v19, s2, 0
	v_add_co_u32_e32 v10, vcc, v20, v10
	v_addc_co_u32_e32 v10, vcc, v21, v11, vcc
	v_addc_co_u32_e32 v11, vcc, 0, v13, vcc
	v_add_co_u32_e32 v10, vcc, v10, v12
	v_addc_co_u32_e32 v11, vcc, 0, v11, vcc
	v_mul_lo_u32 v12, s57, v10
	v_mul_lo_u32 v13, s56, v11
	v_mad_u64_u32 v[10:11], s[0:1], s56, v10, 0
	v_add3_u32 v11, v11, v13, v12
	v_sub_u32_e32 v12, v19, v11
	v_mov_b32_e32 v13, s57
	v_sub_co_u32_e32 v10, vcc, v18, v10
	v_subb_co_u32_e64 v12, s[0:1], v12, v13, vcc
	v_subrev_co_u32_e64 v18, s[0:1], s56, v10
	v_subbrev_co_u32_e64 v20, s[2:3], 0, v12, s[0:1]
	v_cmp_le_u32_e64 s[2:3], s57, v20
	v_cndmask_b32_e64 v21, 0, -1, s[2:3]
	v_cmp_le_u32_e64 s[2:3], s56, v18
	v_subb_co_u32_e64 v12, s[0:1], v12, v13, s[0:1]
	v_cndmask_b32_e64 v22, 0, -1, s[2:3]
	v_cmp_eq_u32_e64 s[2:3], s57, v20
	v_subrev_co_u32_e64 v13, s[0:1], s56, v18
	v_subb_co_u32_e32 v11, vcc, v19, v11, vcc
	v_cndmask_b32_e64 v21, v21, v22, s[2:3]
	v_subbrev_co_u32_e64 v12, s[0:1], 0, v12, s[0:1]
	v_cmp_le_u32_e32 vcc, s57, v11
	v_cmp_ne_u32_e64 s[0:1], 0, v21
	v_cndmask_b32_e64 v19, 0, -1, vcc
	v_cmp_le_u32_e32 vcc, s56, v10
	v_cndmask_b32_e64 v12, v20, v12, s[0:1]
	v_cndmask_b32_e64 v20, 0, -1, vcc
	v_cmp_eq_u32_e32 vcc, s57, v11
	v_cndmask_b32_e32 v19, v19, v20, vcc
	v_cmp_ne_u32_e32 vcc, 0, v19
	v_cndmask_b32_e32 v11, v11, v12, vcc
	v_cndmask_b32_e64 v12, v18, v13, s[0:1]
	v_cndmask_b32_e32 v10, v10, v12, vcc
	v_xor_b32_e32 v10, v10, v3
	v_xor_b32_e32 v11, v11, v3
	v_sub_co_u32_e32 v10, vcc, v10, v3
	v_subb_co_u32_e32 v11, vcc, v11, v3, vcc
                                        ; implicit-def: $vgpr12_vgpr13
.LBB3_17:                               ;   in Loop: Header=BB3_3 Depth=1
	s_andn2_saveexec_b64 s[0:1], s[54:55]
	s_cbranch_execz .LBB3_19
; %bb.18:                               ;   in Loop: Header=BB3_3 Depth=1
	v_cvt_f32_u32_e32 v3, s14
	s_sub_i32 s2, 0, s14
	v_mov_b32_e32 v11, v2
	v_rcp_iflag_f32_e32 v3, v3
	v_mul_f32_e32 v3, 0x4f7ffffe, v3
	v_cvt_u32_f32_e32 v3, v3
	v_mul_lo_u32 v10, s2, v3
	v_mul_hi_u32 v10, v3, v10
	v_add_u32_e32 v3, v3, v10
	v_mul_hi_u32 v3, v12, v3
	v_mul_lo_u32 v3, v3, s14
	v_sub_u32_e32 v3, v12, v3
	v_subrev_u32_e32 v10, s14, v3
	v_cmp_le_u32_e32 vcc, s14, v3
	v_cndmask_b32_e32 v3, v3, v10, vcc
	v_subrev_u32_e32 v10, s14, v3
	v_cmp_le_u32_e32 vcc, s14, v3
	v_cndmask_b32_e32 v10, v3, v10, vcc
.LBB3_19:                               ;   in Loop: Header=BB3_3 Depth=1
	s_or_b64 exec, exec, s[0:1]
	v_mul_lo_u32 v3, v7, s8
	v_mul_lo_u32 v12, v6, s9
	v_mad_u64_u32 v[6:7], s[0:1], v6, s8, 0
	s_waitcnt lgkmcnt(0)
	v_mul_lo_u32 v18, s27, v8
	v_mul_lo_u32 v19, s26, v9
	v_add3_u32 v7, v7, v12, v3
	v_sub_co_u32_e32 v3, vcc, v17, v6
	v_subb_co_u32_e32 v12, vcc, v16, v7, vcc
	v_mul_lo_u32 v13, s25, v3
	v_mul_lo_u32 v16, s24, v12
	v_mad_u64_u32 v[6:7], s[0:1], s24, v3, 0
	s_mov_b64 s[2:3], -1
	s_mov_b64 s[56:57], -1
	v_add3_u32 v7, v7, v16, v13
	v_mad_u64_u32 v[16:17], s[0:1], s26, v8, 0
	v_lshlrev_b64 v[6:7], 3, v[6:7]
	v_mov_b32_e32 v13, s45
	v_add_co_u32_e32 v20, vcc, s44, v6
	v_add3_u32 v17, v17, v19, v18
	v_addc_co_u32_e32 v13, vcc, v13, v7, vcc
	v_lshlrev_b64 v[6:7], 3, v[16:17]
	v_mul_lo_u32 v18, s29, v10
	v_mul_lo_u32 v19, s28, v11
	v_mad_u64_u32 v[16:17], s[0:1], s28, v10, 0
	v_add_co_u32_e32 v20, vcc, v20, v6
	v_add3_u32 v17, v17, v19, v18
	v_addc_co_u32_e32 v13, vcc, v13, v7, vcc
	v_lshlrev_b64 v[6:7], 3, v[16:17]
	v_add_co_u32_e32 v6, vcc, v20, v6
	v_addc_co_u32_e32 v7, vcc, v13, v7, vcc
	global_load_dwordx2 v[6:7], v[6:7], off
	v_mov_b32_e32 v13, 0
	s_waitcnt vmcnt(0)
	v_cmp_ne_u64_e32 vcc, s[38:39], v[6:7]
	s_and_saveexec_b64 s[54:55], vcc
	s_cbranch_execz .LBB3_26
; %bb.20:                               ;   in Loop: Header=BB3_3 Depth=1
	v_cmp_lt_i64_e32 vcc, -1, v[6:7]
	v_cmp_gt_i64_e64 s[0:1], s[10:11], v[6:7]
	s_mov_b64 s[56:57], 0
	s_and_b64 s[62:63], vcc, s[0:1]
	v_mov_b32_e32 v13, 0
	s_and_saveexec_b64 s[0:1], s[62:63]
	s_cbranch_execz .LBB3_25
; %bb.21:                               ;   in Loop: Header=BB3_3 Depth=1
	v_mul_lo_u32 v13, s17, v3
	v_mul_lo_u32 v18, s16, v12
	v_mad_u64_u32 v[16:17], s[56:57], s16, v3, 0
	v_mul_lo_u32 v20, s19, v6
	v_mul_lo_u32 v21, s18, v7
	v_add3_u32 v17, v17, v18, v13
	v_mad_u64_u32 v[18:19], s[56:57], s18, v6, 0
	v_lshlrev_b64 v[16:17], 1, v[16:17]
	v_mov_b32_e32 v13, s7
	v_add_co_u32_e32 v22, vcc, s6, v16
	v_add3_u32 v19, v19, v21, v20
	v_addc_co_u32_e32 v13, vcc, v13, v17, vcc
	v_lshlrev_b64 v[16:17], 1, v[18:19]
	v_mul_lo_u32 v20, s21, v8
	v_mul_lo_u32 v21, s20, v9
	v_mad_u64_u32 v[18:19], s[56:57], s20, v8, 0
	v_add_co_u32_e32 v22, vcc, v22, v16
	v_add3_u32 v19, v19, v21, v20
	v_addc_co_u32_e32 v13, vcc, v13, v17, vcc
	v_lshlrev_b64 v[16:17], 1, v[18:19]
	v_mul_lo_u32 v20, s23, v10
	v_mul_lo_u32 v21, s22, v11
	v_mad_u64_u32 v[18:19], s[56:57], s22, v10, 0
	v_add_co_u32_e32 v22, vcc, v22, v16
	v_add3_u32 v19, v19, v21, v20
	v_addc_co_u32_e32 v13, vcc, v13, v17, vcc
	v_lshlrev_b64 v[16:17], 1, v[18:19]
	v_add_co_u32_e32 v16, vcc, v22, v16
	v_addc_co_u32_e32 v17, vcc, v13, v17, vcc
	global_load_ushort v13, v[16:17], off
	s_andn2_b64 vcc, exec, s[48:49]
	s_cbranch_vccnz .LBB3_23
; %bb.22:                               ;   in Loop: Header=BB3_3 Depth=1
	v_lshlrev_b64 v[6:7], 1, v[6:7]
	v_mov_b32_e32 v16, s37
	v_add_co_u32_e32 v6, vcc, s36, v6
	v_addc_co_u32_e32 v7, vcc, v16, v7, vcc
	global_load_ushort v6, v[6:7], off
	s_waitcnt vmcnt(0)
	v_lshlrev_b32_e32 v6, 16, v6
	s_branch .LBB3_24
.LBB3_23:                               ;   in Loop: Header=BB3_3 Depth=1
	v_mov_b32_e32 v6, 1.0
.LBB3_24:                               ;   in Loop: Header=BB3_3 Depth=1
	s_waitcnt vmcnt(0)
	v_lshlrev_b32_e32 v7, 16, v13
	v_xor_b32_e32 v13, 0x80000000, v7
	v_bfe_u32 v16, v13, 16, 1
	v_add3_u32 v13, v13, v16, s61
	v_and_b32_e32 v13, 0xffff0000, v13
	v_cmp_o_f32_e32 vcc, v7, v7
	v_cndmask_b32_e32 v7, v14, v13, vcc
	v_mul_f32_e32 v6, v7, v6
	v_bfe_u32 v7, v6, 16, 1
	v_add3_u32 v7, v6, v7, s61
	v_cmp_o_f32_e32 vcc, v6, v6
	s_mov_b64 s[56:57], exec
	v_cndmask_b32_sdwa v13, v15, v7, vcc dst_sel:DWORD dst_unused:UNUSED_PAD src0_sel:DWORD src1_sel:WORD_1
.LBB3_25:                               ;   in Loop: Header=BB3_3 Depth=1
	s_or_b64 exec, exec, s[0:1]
	s_orn2_b64 s[56:57], s[56:57], exec
.LBB3_26:                               ;   in Loop: Header=BB3_3 Depth=1
	s_or_b64 exec, exec, s[54:55]
	s_or_b64 s[52:53], s[52:53], exec
	s_and_saveexec_b64 s[0:1], s[56:57]
	s_cbranch_execz .LBB3_2
; %bb.27:                               ;   in Loop: Header=BB3_3 Depth=1
	v_mul_lo_u32 v16, s41, v3
	v_mul_lo_u32 v12, s40, v12
	v_mad_u64_u32 v[6:7], s[2:3], s40, v3, 0
	v_mov_b32_e32 v3, s31
	v_mul_lo_u32 v11, s50, v11
	v_add3_u32 v7, v7, v12, v16
	v_mul_lo_u32 v12, s43, v8
	v_mul_lo_u32 v16, s42, v9
	v_mad_u64_u32 v[8:9], s[2:3], s42, v8, 0
	v_lshlrev_b64 v[6:7], 1, v[6:7]
	s_andn2_b64 s[52:53], s[52:53], exec
	v_add_co_u32_e32 v17, vcc, s30, v6
	v_add3_u32 v9, v9, v16, v12
	v_addc_co_u32_e32 v3, vcc, v3, v7, vcc
	v_lshlrev_b64 v[6:7], 1, v[8:9]
	v_mul_lo_u32 v12, s51, v10
	v_mad_u64_u32 v[8:9], s[2:3], s50, v10, 0
	v_add_co_u32_e32 v10, vcc, v17, v6
	v_add3_u32 v9, v9, v11, v12
	v_addc_co_u32_e32 v3, vcc, v3, v7, vcc
	v_lshlrev_b64 v[6:7], 1, v[8:9]
	v_add_co_u32_e32 v6, vcc, v10, v6
	v_addc_co_u32_e32 v7, vcc, v3, v7, vcc
	v_add_co_u32_e32 v0, vcc, s59, v0
	v_addc_co_u32_e32 v1, vcc, 0, v1, vcc
	v_mov_b32_e32 v3, s60
	v_add_co_u32_e32 v4, vcc, 0, v4
	v_addc_co_u32_e32 v5, vcc, v5, v3, vcc
	v_cmp_le_i64_e32 vcc, s[34:35], v[0:1]
	global_store_short v[6:7], v13, off
	s_orn2_b64 s[2:3], vcc, exec
	s_branch .LBB3_2
.LBB3_28:
	s_or_b64 exec, exec, s[46:47]
	s_and_saveexec_b64 s[0:1], s[4:5]
	s_xor_b64 s[0:1], exec, s[0:1]
	s_cbranch_execnz .LBB3_30
.LBB3_29:
	s_endpgm
.LBB3_30:
	s_trap 2
	; divergent unreachable
	s_endpgm
	.section	.rodata,"a",@progbits
	.p2align	6, 0x0
	.amdhsa_kernel _ZN2at6native12_GLOBAL__N_135nll_loss2d_forward_no_reduce_kernelIN3c108BFloat16EEEvlN5torch10headeronly6detail27GenericPackedTensorAccessorINS7_14TensorAccessorINS3_8ArrayRefIlEET_Lm3ENS6_16DefaultPtrTraitsElEENS_6detail16IndexBoundsCheckILm4ElEESC_Lm4ESD_lEENS8_INS9_ISB_lLm2ESD_lEENSG_ILm3ElEElLm3ESD_lEENS8_INS9_ISB_SC_Lm2ESD_lEESK_SC_Lm3ESD_lEEPKSC_l
		.amdhsa_group_segment_fixed_size 0
		.amdhsa_private_segment_fixed_size 0
		.amdhsa_kernarg_size 464
		.amdhsa_user_sgpr_count 6
		.amdhsa_user_sgpr_private_segment_buffer 1
		.amdhsa_user_sgpr_dispatch_ptr 0
		.amdhsa_user_sgpr_queue_ptr 0
		.amdhsa_user_sgpr_kernarg_segment_ptr 1
		.amdhsa_user_sgpr_dispatch_id 0
		.amdhsa_user_sgpr_flat_scratch_init 0
		.amdhsa_user_sgpr_private_segment_size 0
		.amdhsa_uses_dynamic_stack 0
		.amdhsa_system_sgpr_private_segment_wavefront_offset 0
		.amdhsa_system_sgpr_workgroup_id_x 1
		.amdhsa_system_sgpr_workgroup_id_y 0
		.amdhsa_system_sgpr_workgroup_id_z 0
		.amdhsa_system_sgpr_workgroup_info 0
		.amdhsa_system_vgpr_workitem_id 0
		.amdhsa_next_free_vgpr 24
		.amdhsa_next_free_sgpr 69
		.amdhsa_reserve_vcc 1
		.amdhsa_reserve_flat_scratch 0
		.amdhsa_float_round_mode_32 0
		.amdhsa_float_round_mode_16_64 0
		.amdhsa_float_denorm_mode_32 3
		.amdhsa_float_denorm_mode_16_64 3
		.amdhsa_dx10_clamp 1
		.amdhsa_ieee_mode 1
		.amdhsa_fp16_overflow 0
		.amdhsa_exception_fp_ieee_invalid_op 0
		.amdhsa_exception_fp_denorm_src 0
		.amdhsa_exception_fp_ieee_div_zero 0
		.amdhsa_exception_fp_ieee_overflow 0
		.amdhsa_exception_fp_ieee_underflow 0
		.amdhsa_exception_fp_ieee_inexact 0
		.amdhsa_exception_int_div_zero 0
	.end_amdhsa_kernel
	.section	.text._ZN2at6native12_GLOBAL__N_135nll_loss2d_forward_no_reduce_kernelIN3c108BFloat16EEEvlN5torch10headeronly6detail27GenericPackedTensorAccessorINS7_14TensorAccessorINS3_8ArrayRefIlEET_Lm3ENS6_16DefaultPtrTraitsElEENS_6detail16IndexBoundsCheckILm4ElEESC_Lm4ESD_lEENS8_INS9_ISB_lLm2ESD_lEENSG_ILm3ElEElLm3ESD_lEENS8_INS9_ISB_SC_Lm2ESD_lEESK_SC_Lm3ESD_lEEPKSC_l,"axG",@progbits,_ZN2at6native12_GLOBAL__N_135nll_loss2d_forward_no_reduce_kernelIN3c108BFloat16EEEvlN5torch10headeronly6detail27GenericPackedTensorAccessorINS7_14TensorAccessorINS3_8ArrayRefIlEET_Lm3ENS6_16DefaultPtrTraitsElEENS_6detail16IndexBoundsCheckILm4ElEESC_Lm4ESD_lEENS8_INS9_ISB_lLm2ESD_lEENSG_ILm3ElEElLm3ESD_lEENS8_INS9_ISB_SC_Lm2ESD_lEESK_SC_Lm3ESD_lEEPKSC_l,comdat
.Lfunc_end3:
	.size	_ZN2at6native12_GLOBAL__N_135nll_loss2d_forward_no_reduce_kernelIN3c108BFloat16EEEvlN5torch10headeronly6detail27GenericPackedTensorAccessorINS7_14TensorAccessorINS3_8ArrayRefIlEET_Lm3ENS6_16DefaultPtrTraitsElEENS_6detail16IndexBoundsCheckILm4ElEESC_Lm4ESD_lEENS8_INS9_ISB_lLm2ESD_lEENSG_ILm3ElEElLm3ESD_lEENS8_INS9_ISB_SC_Lm2ESD_lEESK_SC_Lm3ESD_lEEPKSC_l, .Lfunc_end3-_ZN2at6native12_GLOBAL__N_135nll_loss2d_forward_no_reduce_kernelIN3c108BFloat16EEEvlN5torch10headeronly6detail27GenericPackedTensorAccessorINS7_14TensorAccessorINS3_8ArrayRefIlEET_Lm3ENS6_16DefaultPtrTraitsElEENS_6detail16IndexBoundsCheckILm4ElEESC_Lm4ESD_lEENS8_INS9_ISB_lLm2ESD_lEENSG_ILm3ElEElLm3ESD_lEENS8_INS9_ISB_SC_Lm2ESD_lEESK_SC_Lm3ESD_lEEPKSC_l
                                        ; -- End function
	.set _ZN2at6native12_GLOBAL__N_135nll_loss2d_forward_no_reduce_kernelIN3c108BFloat16EEEvlN5torch10headeronly6detail27GenericPackedTensorAccessorINS7_14TensorAccessorINS3_8ArrayRefIlEET_Lm3ENS6_16DefaultPtrTraitsElEENS_6detail16IndexBoundsCheckILm4ElEESC_Lm4ESD_lEENS8_INS9_ISB_lLm2ESD_lEENSG_ILm3ElEElLm3ESD_lEENS8_INS9_ISB_SC_Lm2ESD_lEESK_SC_Lm3ESD_lEEPKSC_l.num_vgpr, 24
	.set _ZN2at6native12_GLOBAL__N_135nll_loss2d_forward_no_reduce_kernelIN3c108BFloat16EEEvlN5torch10headeronly6detail27GenericPackedTensorAccessorINS7_14TensorAccessorINS3_8ArrayRefIlEET_Lm3ENS6_16DefaultPtrTraitsElEENS_6detail16IndexBoundsCheckILm4ElEESC_Lm4ESD_lEENS8_INS9_ISB_lLm2ESD_lEENSG_ILm3ElEElLm3ESD_lEENS8_INS9_ISB_SC_Lm2ESD_lEESK_SC_Lm3ESD_lEEPKSC_l.num_agpr, 0
	.set _ZN2at6native12_GLOBAL__N_135nll_loss2d_forward_no_reduce_kernelIN3c108BFloat16EEEvlN5torch10headeronly6detail27GenericPackedTensorAccessorINS7_14TensorAccessorINS3_8ArrayRefIlEET_Lm3ENS6_16DefaultPtrTraitsElEENS_6detail16IndexBoundsCheckILm4ElEESC_Lm4ESD_lEENS8_INS9_ISB_lLm2ESD_lEENSG_ILm3ElEElLm3ESD_lEENS8_INS9_ISB_SC_Lm2ESD_lEESK_SC_Lm3ESD_lEEPKSC_l.numbered_sgpr, 69
	.set _ZN2at6native12_GLOBAL__N_135nll_loss2d_forward_no_reduce_kernelIN3c108BFloat16EEEvlN5torch10headeronly6detail27GenericPackedTensorAccessorINS7_14TensorAccessorINS3_8ArrayRefIlEET_Lm3ENS6_16DefaultPtrTraitsElEENS_6detail16IndexBoundsCheckILm4ElEESC_Lm4ESD_lEENS8_INS9_ISB_lLm2ESD_lEENSG_ILm3ElEElLm3ESD_lEENS8_INS9_ISB_SC_Lm2ESD_lEESK_SC_Lm3ESD_lEEPKSC_l.num_named_barrier, 0
	.set _ZN2at6native12_GLOBAL__N_135nll_loss2d_forward_no_reduce_kernelIN3c108BFloat16EEEvlN5torch10headeronly6detail27GenericPackedTensorAccessorINS7_14TensorAccessorINS3_8ArrayRefIlEET_Lm3ENS6_16DefaultPtrTraitsElEENS_6detail16IndexBoundsCheckILm4ElEESC_Lm4ESD_lEENS8_INS9_ISB_lLm2ESD_lEENSG_ILm3ElEElLm3ESD_lEENS8_INS9_ISB_SC_Lm2ESD_lEESK_SC_Lm3ESD_lEEPKSC_l.private_seg_size, 0
	.set _ZN2at6native12_GLOBAL__N_135nll_loss2d_forward_no_reduce_kernelIN3c108BFloat16EEEvlN5torch10headeronly6detail27GenericPackedTensorAccessorINS7_14TensorAccessorINS3_8ArrayRefIlEET_Lm3ENS6_16DefaultPtrTraitsElEENS_6detail16IndexBoundsCheckILm4ElEESC_Lm4ESD_lEENS8_INS9_ISB_lLm2ESD_lEENSG_ILm3ElEElLm3ESD_lEENS8_INS9_ISB_SC_Lm2ESD_lEESK_SC_Lm3ESD_lEEPKSC_l.uses_vcc, 1
	.set _ZN2at6native12_GLOBAL__N_135nll_loss2d_forward_no_reduce_kernelIN3c108BFloat16EEEvlN5torch10headeronly6detail27GenericPackedTensorAccessorINS7_14TensorAccessorINS3_8ArrayRefIlEET_Lm3ENS6_16DefaultPtrTraitsElEENS_6detail16IndexBoundsCheckILm4ElEESC_Lm4ESD_lEENS8_INS9_ISB_lLm2ESD_lEENSG_ILm3ElEElLm3ESD_lEENS8_INS9_ISB_SC_Lm2ESD_lEESK_SC_Lm3ESD_lEEPKSC_l.uses_flat_scratch, 0
	.set _ZN2at6native12_GLOBAL__N_135nll_loss2d_forward_no_reduce_kernelIN3c108BFloat16EEEvlN5torch10headeronly6detail27GenericPackedTensorAccessorINS7_14TensorAccessorINS3_8ArrayRefIlEET_Lm3ENS6_16DefaultPtrTraitsElEENS_6detail16IndexBoundsCheckILm4ElEESC_Lm4ESD_lEENS8_INS9_ISB_lLm2ESD_lEENSG_ILm3ElEElLm3ESD_lEENS8_INS9_ISB_SC_Lm2ESD_lEESK_SC_Lm3ESD_lEEPKSC_l.has_dyn_sized_stack, 0
	.set _ZN2at6native12_GLOBAL__N_135nll_loss2d_forward_no_reduce_kernelIN3c108BFloat16EEEvlN5torch10headeronly6detail27GenericPackedTensorAccessorINS7_14TensorAccessorINS3_8ArrayRefIlEET_Lm3ENS6_16DefaultPtrTraitsElEENS_6detail16IndexBoundsCheckILm4ElEESC_Lm4ESD_lEENS8_INS9_ISB_lLm2ESD_lEENSG_ILm3ElEElLm3ESD_lEENS8_INS9_ISB_SC_Lm2ESD_lEESK_SC_Lm3ESD_lEEPKSC_l.has_recursion, 0
	.set _ZN2at6native12_GLOBAL__N_135nll_loss2d_forward_no_reduce_kernelIN3c108BFloat16EEEvlN5torch10headeronly6detail27GenericPackedTensorAccessorINS7_14TensorAccessorINS3_8ArrayRefIlEET_Lm3ENS6_16DefaultPtrTraitsElEENS_6detail16IndexBoundsCheckILm4ElEESC_Lm4ESD_lEENS8_INS9_ISB_lLm2ESD_lEENSG_ILm3ElEElLm3ESD_lEENS8_INS9_ISB_SC_Lm2ESD_lEESK_SC_Lm3ESD_lEEPKSC_l.has_indirect_call, 0
	.section	.AMDGPU.csdata,"",@progbits
; Kernel info:
; codeLenInByte = 4012
; TotalNumSgprs: 73
; NumVgprs: 24
; ScratchSize: 0
; MemoryBound: 0
; FloatMode: 240
; IeeeMode: 1
; LDSByteSize: 0 bytes/workgroup (compile time only)
; SGPRBlocks: 9
; VGPRBlocks: 5
; NumSGPRsForWavesPerEU: 73
; NumVGPRsForWavesPerEU: 24
; Occupancy: 10
; WaveLimiterHint : 1
; COMPUTE_PGM_RSRC2:SCRATCH_EN: 0
; COMPUTE_PGM_RSRC2:USER_SGPR: 6
; COMPUTE_PGM_RSRC2:TRAP_HANDLER: 0
; COMPUTE_PGM_RSRC2:TGID_X_EN: 1
; COMPUTE_PGM_RSRC2:TGID_Y_EN: 0
; COMPUTE_PGM_RSRC2:TGID_Z_EN: 0
; COMPUTE_PGM_RSRC2:TIDIG_COMP_CNT: 0
	.section	.text._ZN2at6native12_GLOBAL__N_125nll_loss2d_forward_kernelIddiEEvPT_S4_PKS3_PKlS6_iiil,"axG",@progbits,_ZN2at6native12_GLOBAL__N_125nll_loss2d_forward_kernelIddiEEvPT_S4_PKS3_PKlS6_iiil,comdat
	.globl	_ZN2at6native12_GLOBAL__N_125nll_loss2d_forward_kernelIddiEEvPT_S4_PKS3_PKlS6_iiil ; -- Begin function _ZN2at6native12_GLOBAL__N_125nll_loss2d_forward_kernelIddiEEvPT_S4_PKS3_PKlS6_iiil
	.p2align	8
	.type	_ZN2at6native12_GLOBAL__N_125nll_loss2d_forward_kernelIddiEEvPT_S4_PKS3_PKlS6_iiil,@function
_ZN2at6native12_GLOBAL__N_125nll_loss2d_forward_kernelIddiEEvPT_S4_PKS3_PKlS6_iiil: ; @_ZN2at6native12_GLOBAL__N_125nll_loss2d_forward_kernelIddiEEvPT_S4_PKS3_PKlS6_iiil
; %bb.0:
	s_load_dwordx4 s[16:19], s[4:5], 0x28
	s_load_dwordx2 s[22:23], s[4:5], 0x20
	s_load_dwordx8 s[8:15], s[4:5], 0x0
	s_load_dword s2, s[4:5], 0x4c
	v_mov_b32_e32 v3, 0
	v_mov_b32_e32 v7, 0
	s_waitcnt lgkmcnt(0)
	v_cvt_f32_u32_e32 v1, s18
	s_sub_i32 s3, 0, s18
	s_mov_b64 s[0:1], -1
	s_mov_b64 s[20:21], 0
	v_rcp_iflag_f32_e32 v1, v1
	v_mov_b32_e32 v4, 0
	v_mov_b32_e32 v8, 0
	v_mul_f32_e32 v1, 0x4f7ffffe, v1
	v_cvt_u32_f32_e32 v1, v1
	v_readfirstlane_b32 s7, v1
	s_mul_i32 s3, s3, s7
	s_mul_hi_u32 s3, s7, s3
	s_add_i32 s7, s7, s3
	s_mul_hi_u32 s3, s6, s7
	s_mul_i32 s7, s3, s18
	s_sub_i32 s7, s6, s7
	s_add_i32 s19, s3, 1
	s_sub_i32 s24, s7, s18
	s_cmp_ge_u32 s7, s18
	s_cselect_b32 s3, s19, s3
	s_cselect_b32 s7, s24, s7
	s_add_i32 s19, s3, 1
	s_cmp_ge_u32 s7, s18
	s_cselect_b32 s3, s19, s3
	s_and_b32 s33, s2, 0xffff
	s_mul_i32 s2, s3, s18
	s_sub_i32 s2, s6, s2
	s_mul_i32 s2, s2, s33
	v_add_u32_e32 v12, s2, v0
	v_cmp_gt_i32_e32 vcc, s17, v12
	s_mov_b64 s[6:7], 0
	s_and_saveexec_b64 s[24:25], vcc
	s_cbranch_execnz .LBB4_6
; %bb.1:
	s_or_b64 exec, exec, s[24:25]
	s_and_saveexec_b64 s[2:3], s[0:1]
	s_xor_b64 s[4:5], exec, s[2:3]
	s_cbranch_execnz .LBB4_22
.LBB4_2:
	s_or_b64 exec, exec, s[4:5]
	s_mov_b64 s[0:1], 0
	s_and_saveexec_b64 s[2:3], s[20:21]
	s_cbranch_execnz .LBB4_48
.LBB4_3:
	s_or_b64 exec, exec, s[2:3]
	s_and_saveexec_b64 s[2:3], s[6:7]
	s_cbranch_execnz .LBB4_49
.LBB4_4:
	s_or_b64 exec, exec, s[2:3]
	s_and_saveexec_b64 s[2:3], s[0:1]
	s_cbranch_execnz .LBB4_50
.LBB4_5:
	s_endpgm
.LBB4_6:
	s_mul_i32 s3, s3, s17
	s_cmp_lg_u64 s[22:23], 0
	s_cselect_b64 s[0:1], -1, 0
	s_add_i32 s2, s2, s3
	v_add_u32_e32 v1, s2, v0
	v_ashrrev_i32_e32 v2, 31, v1
	s_load_dwordx2 s[4:5], s[4:5], 0x38
	v_lshlrev_b64 v[1:2], 3, v[1:2]
	s_mul_i32 s18, s18, s33
	v_mov_b32_e32 v4, s15
	v_add_co_u32_e32 v3, vcc, s14, v1
	v_cndmask_b32_e64 v5, 0, 1, s[0:1]
	v_addc_co_u32_e32 v4, vcc, v4, v2, vcc
	s_ashr_i32 s19, s18, 31
	v_mov_b32_e32 v1, 0
	v_cmp_ne_u32_e64 s[0:1], 1, v5
	v_mov_b32_e32 v5, 0
	s_mul_i32 s38, s3, s16
	s_lshl_b64 s[20:21], s[18:19], 3
	v_mov_b32_e32 v2, 0
	v_mov_b32_e32 v6, 0
	;; [unrolled: 1-line block ×3, first 2 shown]
                                        ; implicit-def: $sgpr26_sgpr27
                                        ; implicit-def: $sgpr14_sgpr15
	s_branch .LBB4_8
.LBB4_7:                                ;   in Loop: Header=BB4_8 Depth=1
	s_or_b64 exec, exec, s[36:37]
	s_xor_b64 s[30:31], s[30:31], -1
	s_xor_b64 s[2:3], s[2:3], -1
	s_and_b64 s[28:29], exec, s[28:29]
	s_or_b64 s[6:7], s[28:29], s[6:7]
	s_andn2_b64 s[14:15], s[14:15], exec
	s_and_b64 s[28:29], s[30:31], exec
	s_andn2_b64 s[26:27], s[26:27], exec
	s_and_b64 s[2:3], s[2:3], exec
	s_or_b64 s[14:15], s[14:15], s[28:29]
	s_or_b64 s[26:27], s[26:27], s[2:3]
	s_andn2_b64 exec, exec, s[6:7]
	s_cbranch_execz .LBB4_19
.LBB4_8:                                ; =>This Inner Loop Header: Depth=1
	global_load_dwordx2 v[9:10], v[3:4], off
	s_mov_b64 s[34:35], -1
                                        ; implicit-def: $sgpr2_sgpr3
                                        ; implicit-def: $sgpr30_sgpr31
	s_waitcnt vmcnt(0)
	v_ashrrev_i32_e32 v10, 31, v9
	s_waitcnt lgkmcnt(0)
	v_cmp_ne_u64_e32 vcc, s[4:5], v[9:10]
	s_and_saveexec_b64 s[28:29], vcc
	s_cbranch_execz .LBB4_17
; %bb.9:                                ;   in Loop: Header=BB4_8 Depth=1
	v_cmp_lt_i32_e32 vcc, -1, v9
	v_cmp_gt_i32_e64 s[2:3], s16, v9
	s_and_b64 s[40:41], vcc, s[2:3]
	s_mov_b64 s[2:3], -1
	s_mov_b64 s[36:37], 0
	s_mov_b64 s[30:31], 0
	s_and_saveexec_b64 s[34:35], s[40:41]
	s_cbranch_execz .LBB4_16
; %bb.10:                               ;   in Loop: Header=BB4_8 Depth=1
	s_and_b64 vcc, exec, s[0:1]
	s_cbranch_vccnz .LBB4_12
; %bb.11:                               ;   in Loop: Header=BB4_8 Depth=1
	v_lshlrev_b64 v[10:11], 3, v[9:10]
	v_mov_b32_e32 v7, s23
	v_add_co_u32_e32 v10, vcc, s22, v10
	v_addc_co_u32_e32 v11, vcc, v7, v11, vcc
	global_load_dwordx2 v[10:11], v[10:11], off
	s_branch .LBB4_13
.LBB4_12:                               ;   in Loop: Header=BB4_8 Depth=1
	v_mov_b32_e32 v10, 0
	v_mov_b32_e32 v11, 0x3ff00000
.LBB4_13:                               ;   in Loop: Header=BB4_8 Depth=1
	v_mul_lo_u32 v7, s17, v9
	v_add3_u32 v7, s38, v12, v7
	v_cmp_lt_i32_e32 vcc, -1, v7
	s_and_saveexec_b64 s[2:3], vcc
	s_cbranch_execz .LBB4_15
; %bb.14:                               ;   in Loop: Header=BB4_8 Depth=1
	v_lshlrev_b64 v[13:14], 3, v[7:8]
	v_mov_b32_e32 v7, s13
	v_add_co_u32_e32 v13, vcc, s12, v13
	v_addc_co_u32_e32 v14, vcc, v7, v14, vcc
	global_load_dwordx2 v[13:14], v[13:14], off
	s_waitcnt vmcnt(1)
	v_add_f64 v[5:6], v[5:6], v[10:11]
	s_mov_b64 s[36:37], exec
	s_waitcnt vmcnt(0)
	v_fma_f64 v[1:2], -v[10:11], v[13:14], v[1:2]
.LBB4_15:                               ;   in Loop: Header=BB4_8 Depth=1
	s_or_b64 exec, exec, s[2:3]
	s_mov_b64 s[30:31], exec
	s_xor_b64 s[2:3], exec, -1
	s_and_b64 s[36:37], s[36:37], exec
.LBB4_16:                               ;   in Loop: Header=BB4_8 Depth=1
	s_or_b64 exec, exec, s[34:35]
	s_orn2_b64 s[34:35], s[36:37], exec
.LBB4_17:                               ;   in Loop: Header=BB4_8 Depth=1
	s_or_b64 exec, exec, s[28:29]
	s_mov_b64 s[28:29], -1
	s_and_saveexec_b64 s[36:37], s[34:35]
	s_cbranch_execz .LBB4_7
; %bb.18:                               ;   in Loop: Header=BB4_8 Depth=1
	v_mov_b32_e32 v7, s21
	v_add_co_u32_e32 v3, vcc, s20, v3
	v_add_u32_e32 v12, s18, v12
	v_addc_co_u32_e32 v4, vcc, v4, v7, vcc
	v_cmp_le_i32_e32 vcc, s17, v12
	s_andn2_b64 s[30:31], s[30:31], exec
	s_andn2_b64 s[2:3], s[2:3], exec
	s_orn2_b64 s[28:29], vcc, exec
	s_branch .LBB4_7
.LBB4_19:
	s_or_b64 exec, exec, s[6:7]
	v_mov_b32_e32 v3, 0
	v_mov_b32_e32 v7, 0
	s_mov_b64 s[0:1], 0
	s_mov_b64 s[2:3], -1
	v_mov_b32_e32 v4, 0
	v_mov_b32_e32 v8, 0
	s_mov_b64 s[4:5], 0
	s_and_saveexec_b64 s[6:7], s[26:27]
	s_xor_b64 s[6:7], exec, s[6:7]
; %bb.20:
	v_mov_b32_e32 v4, v2
	v_mov_b32_e32 v8, v6
	s_mov_b64 s[4:5], exec
	s_xor_b64 s[2:3], exec, -1
	s_and_b64 s[0:1], s[14:15], exec
	v_mov_b32_e32 v3, v1
	v_mov_b32_e32 v7, v5
; %bb.21:
	s_or_b64 exec, exec, s[6:7]
	s_and_b64 s[6:7], s[2:3], exec
	s_and_b64 s[20:21], s[4:5], exec
	s_orn2_b64 s[0:1], s[0:1], exec
	s_or_b64 exec, exec, s[24:25]
	s_and_saveexec_b64 s[2:3], s[0:1]
	s_xor_b64 s[4:5], exec, s[2:3]
	s_cbranch_execz .LBB4_2
.LBB4_22:
	v_mbcnt_lo_u32_b32 v1, -1, 0
	v_mbcnt_hi_u32_b32 v12, -1, v1
	v_mov_b32_e32 v1, 0x80
	v_lshl_or_b32 v9, v12, 2, v1
	ds_bpermute_b32 v1, v9, v7
	ds_bpermute_b32 v2, v9, v8
	v_and_b32_e32 v13, 63, v12
	v_cmp_gt_u32_e32 vcc, 48, v13
	v_cndmask_b32_e64 v5, 0, 16, vcc
	v_cmp_gt_u32_e32 vcc, 56, v13
	s_waitcnt lgkmcnt(0)
	v_add_f64 v[1:2], v[7:8], v[1:2]
	v_add_lshl_u32 v7, v5, v12, 2
	v_and_b32_e32 v14, 63, v0
	s_waitcnt vmcnt(0)
	s_barrier
	ds_bpermute_b32 v5, v7, v1
	ds_bpermute_b32 v6, v7, v2
	s_waitcnt lgkmcnt(0)
	v_add_f64 v[1:2], v[1:2], v[5:6]
	v_cndmask_b32_e64 v5, 0, 8, vcc
	v_add_lshl_u32 v8, v5, v12, 2
	v_cmp_gt_u32_e32 vcc, 60, v13
	ds_bpermute_b32 v5, v8, v1
	ds_bpermute_b32 v6, v8, v2
	s_waitcnt lgkmcnt(0)
	v_add_f64 v[1:2], v[1:2], v[5:6]
	v_cndmask_b32_e64 v5, 0, 4, vcc
	v_add_lshl_u32 v10, v5, v12, 2
	v_cmp_gt_u32_e32 vcc, 62, v13
	ds_bpermute_b32 v5, v10, v1
	ds_bpermute_b32 v6, v10, v2
	s_waitcnt lgkmcnt(0)
	v_add_f64 v[1:2], v[1:2], v[5:6]
	v_cndmask_b32_e64 v5, 0, 2, vcc
	v_add_lshl_u32 v11, v5, v12, 2
	v_cmp_ne_u32_e32 vcc, 63, v13
	v_lshrrev_b32_e32 v13, 3, v0
	ds_bpermute_b32 v5, v11, v1
	ds_bpermute_b32 v6, v11, v2
	s_waitcnt lgkmcnt(0)
	v_add_f64 v[1:2], v[1:2], v[5:6]
	v_addc_co_u32_e32 v5, vcc, 0, v12, vcc
	v_lshlrev_b32_e32 v12, 2, v5
	v_cmp_eq_u32_e32 vcc, 0, v14
	ds_bpermute_b32 v5, v12, v1
	ds_bpermute_b32 v6, v12, v2
	s_and_saveexec_b64 s[0:1], vcc
	s_cbranch_execz .LBB4_24
; %bb.23:
	s_waitcnt lgkmcnt(0)
	v_add_f64 v[1:2], v[1:2], v[5:6]
	ds_write_b64 v13, v[1:2] offset:8192
.LBB4_24:
	s_or_b64 exec, exec, s[0:1]
	s_lshr_b32 s0, s33, 6
	v_mov_b32_e32 v1, 0
	v_cmp_gt_u32_e64 s[0:1], s0, v0
	v_mov_b32_e32 v2, 0
	v_lshlrev_b32_e32 v14, 3, v14
	s_waitcnt lgkmcnt(0)
	s_barrier
	s_and_saveexec_b64 s[2:3], s[0:1]
; %bb.25:
	ds_read_b64 v[1:2], v14 offset:8192
; %bb.26:
	s_or_b64 exec, exec, s[2:3]
	v_cmp_gt_u32_e64 s[2:3], 64, v0
	s_and_saveexec_b64 s[12:13], s[2:3]
	s_cbranch_execz .LBB4_28
; %bb.27:
	s_waitcnt lgkmcnt(0)
	ds_bpermute_b32 v5, v9, v1
	ds_bpermute_b32 v6, v9, v2
	s_waitcnt lgkmcnt(0)
	v_add_f64 v[1:2], v[1:2], v[5:6]
	ds_bpermute_b32 v5, v7, v1
	ds_bpermute_b32 v6, v7, v2
	s_waitcnt lgkmcnt(0)
	v_add_f64 v[1:2], v[1:2], v[5:6]
	;; [unrolled: 4-line block ×6, first 2 shown]
.LBB4_28:
	s_or_b64 exec, exec, s[12:13]
	ds_bpermute_b32 v5, v9, v3
	ds_bpermute_b32 v6, v9, v4
	s_waitcnt lgkmcnt(0)
	s_barrier
	v_add_f64 v[3:4], v[3:4], v[5:6]
	ds_bpermute_b32 v5, v7, v3
	ds_bpermute_b32 v6, v7, v4
	s_waitcnt lgkmcnt(0)
	v_add_f64 v[3:4], v[3:4], v[5:6]
	ds_bpermute_b32 v5, v8, v3
	ds_bpermute_b32 v6, v8, v4
	s_waitcnt lgkmcnt(0)
	;; [unrolled: 4-line block ×4, first 2 shown]
	v_add_f64 v[3:4], v[3:4], v[5:6]
	ds_bpermute_b32 v5, v12, v3
	ds_bpermute_b32 v6, v12, v4
	s_and_saveexec_b64 s[12:13], vcc
	s_cbranch_execz .LBB4_30
; %bb.29:
	s_waitcnt lgkmcnt(0)
	v_add_f64 v[3:4], v[3:4], v[5:6]
	ds_write_b64 v13, v[3:4]
.LBB4_30:
	s_or_b64 exec, exec, s[12:13]
	s_waitcnt lgkmcnt(1)
	v_mov_b32_e32 v4, 0
	v_mov_b32_e32 v5, 0
	s_waitcnt lgkmcnt(0)
	s_barrier
	s_and_saveexec_b64 s[12:13], s[0:1]
	s_cbranch_execnz .LBB4_33
; %bb.31:
	s_or_b64 exec, exec, s[12:13]
	s_and_saveexec_b64 s[0:1], s[2:3]
	s_cbranch_execnz .LBB4_34
.LBB4_32:
	s_or_b64 exec, exec, s[0:1]
	v_cmp_eq_u32_e32 vcc, 0, v0
	s_and_saveexec_b64 s[0:1], vcc
	s_cbranch_execnz .LBB4_35
	s_branch .LBB4_47
.LBB4_33:
	ds_read_b64 v[4:5], v14
	s_or_b64 exec, exec, s[12:13]
	s_and_saveexec_b64 s[0:1], s[2:3]
	s_cbranch_execz .LBB4_32
.LBB4_34:
	s_waitcnt lgkmcnt(0)
	ds_bpermute_b32 v13, v9, v4
	ds_bpermute_b32 v14, v9, v5
	s_waitcnt lgkmcnt(0)
	v_add_f64 v[3:4], v[4:5], v[13:14]
	ds_bpermute_b32 v5, v7, v3
	ds_bpermute_b32 v6, v7, v4
	s_waitcnt lgkmcnt(0)
	v_add_f64 v[3:4], v[3:4], v[5:6]
	;; [unrolled: 4-line block ×6, first 2 shown]
	s_or_b64 exec, exec, s[0:1]
	v_cmp_eq_u32_e32 vcc, 0, v0
	s_and_saveexec_b64 s[0:1], vcc
	s_cbranch_execz .LBB4_47
.LBB4_35:
	v_mov_b32_e32 v6, 0
	s_mov_b64 s[2:3], exec
	v_bfrev_b32_e32 v7, 1
.LBB4_36:                               ; =>This Inner Loop Header: Depth=1
	s_ff1_i32_b64 s14, s[2:3]
	v_readlane_b32 s13, v2, s14
	v_readlane_b32 s12, v1, s14
	v_add_f64 v[6:7], v[6:7], s[12:13]
	s_lshl_b64 s[12:13], 1, s14
	s_andn2_b64 s[2:3], s[2:3], s[12:13]
	s_cmp_lg_u64 s[2:3], 0
	s_cbranch_scc1 .LBB4_36
; %bb.37:
	v_mbcnt_lo_u32_b32 v0, exec_lo, 0
	v_mbcnt_hi_u32_b32 v0, exec_hi, v0
	v_cmp_eq_u32_e32 vcc, 0, v0
	s_and_saveexec_b64 s[2:3], vcc
	s_xor_b64 s[2:3], exec, s[2:3]
	s_cbranch_execz .LBB4_41
; %bb.38:
	s_load_dwordx2 s[14:15], s[10:11], 0x0
	s_mov_b64 s[12:13], 0
	v_mov_b32_e32 v8, 0
	s_waitcnt lgkmcnt(0)
	v_mov_b32_e32 v2, s14
	v_mov_b32_e32 v3, s15
.LBB4_39:                               ; =>This Inner Loop Header: Depth=1
	v_add_f64 v[0:1], v[2:3], v[6:7]
	global_atomic_cmpswap_x2 v[0:1], v8, v[0:3], s[10:11] glc
	s_waitcnt vmcnt(0)
	v_cmp_eq_u64_e32 vcc, v[0:1], v[2:3]
	v_mov_b32_e32 v3, v1
	s_or_b64 s[12:13], vcc, s[12:13]
	v_mov_b32_e32 v2, v0
	s_andn2_b64 exec, exec, s[12:13]
	s_cbranch_execnz .LBB4_39
; %bb.40:
	s_or_b64 exec, exec, s[12:13]
.LBB4_41:
	s_or_b64 exec, exec, s[2:3]
	v_mov_b32_e32 v6, 0
	s_mov_b64 s[2:3], exec
	v_bfrev_b32_e32 v7, 1
.LBB4_42:                               ; =>This Inner Loop Header: Depth=1
	s_ff1_i32_b64 s12, s[2:3]
	s_waitcnt lgkmcnt(0)
	v_readlane_b32 s11, v5, s12
	v_readlane_b32 s10, v4, s12
	v_add_f64 v[6:7], v[6:7], s[10:11]
	s_lshl_b64 s[10:11], 1, s12
	s_andn2_b64 s[2:3], s[2:3], s[10:11]
	s_cmp_lg_u64 s[2:3], 0
	s_cbranch_scc1 .LBB4_42
; %bb.43:
	v_mbcnt_lo_u32_b32 v0, exec_lo, 0
	v_mbcnt_hi_u32_b32 v0, exec_hi, v0
	v_cmp_eq_u32_e32 vcc, 0, v0
	s_and_saveexec_b64 s[2:3], vcc
	s_xor_b64 s[2:3], exec, s[2:3]
	s_cbranch_execz .LBB4_47
; %bb.44:
	v_mov_b32_e32 v4, 0
	global_load_dwordx2 v[2:3], v4, s[8:9]
	s_mov_b64 s[2:3], 0
.LBB4_45:                               ; =>This Inner Loop Header: Depth=1
	s_waitcnt vmcnt(0)
	v_add_f64 v[0:1], v[2:3], v[6:7]
	global_atomic_cmpswap_x2 v[0:1], v4, v[0:3], s[8:9] glc
	s_waitcnt vmcnt(0)
	v_cmp_eq_u64_e32 vcc, v[0:1], v[2:3]
	v_mov_b32_e32 v3, v1
	s_or_b64 s[2:3], vcc, s[2:3]
	v_mov_b32_e32 v2, v0
	s_andn2_b64 exec, exec, s[2:3]
	s_cbranch_execnz .LBB4_45
; %bb.46:
	s_or_b64 exec, exec, s[2:3]
.LBB4_47:
	s_or_b64 exec, exec, s[0:1]
	s_andn2_b64 s[20:21], s[20:21], exec
	s_or_b64 exec, exec, s[4:5]
	s_mov_b64 s[0:1], 0
	s_and_saveexec_b64 s[2:3], s[20:21]
	s_cbranch_execz .LBB4_3
.LBB4_48:
	s_mov_b64 s[0:1], exec
	s_trap 2
	s_or_b64 exec, exec, s[2:3]
	s_and_saveexec_b64 s[2:3], s[6:7]
	s_cbranch_execz .LBB4_4
.LBB4_49:
	s_or_b64 s[0:1], s[0:1], exec
	s_trap 2
	s_or_b64 exec, exec, s[2:3]
	s_and_saveexec_b64 s[2:3], s[0:1]
	s_cbranch_execz .LBB4_5
.LBB4_50:
	; divergent unreachable
	s_endpgm
	.section	.rodata,"a",@progbits
	.p2align	6, 0x0
	.amdhsa_kernel _ZN2at6native12_GLOBAL__N_125nll_loss2d_forward_kernelIddiEEvPT_S4_PKS3_PKlS6_iiil
		.amdhsa_group_segment_fixed_size 16384
		.amdhsa_private_segment_fixed_size 0
		.amdhsa_kernarg_size 320
		.amdhsa_user_sgpr_count 6
		.amdhsa_user_sgpr_private_segment_buffer 1
		.amdhsa_user_sgpr_dispatch_ptr 0
		.amdhsa_user_sgpr_queue_ptr 0
		.amdhsa_user_sgpr_kernarg_segment_ptr 1
		.amdhsa_user_sgpr_dispatch_id 0
		.amdhsa_user_sgpr_flat_scratch_init 0
		.amdhsa_user_sgpr_private_segment_size 0
		.amdhsa_uses_dynamic_stack 0
		.amdhsa_system_sgpr_private_segment_wavefront_offset 0
		.amdhsa_system_sgpr_workgroup_id_x 1
		.amdhsa_system_sgpr_workgroup_id_y 0
		.amdhsa_system_sgpr_workgroup_id_z 0
		.amdhsa_system_sgpr_workgroup_info 0
		.amdhsa_system_vgpr_workitem_id 0
		.amdhsa_next_free_vgpr 29
		.amdhsa_next_free_sgpr 61
		.amdhsa_reserve_vcc 1
		.amdhsa_reserve_flat_scratch 0
		.amdhsa_float_round_mode_32 0
		.amdhsa_float_round_mode_16_64 0
		.amdhsa_float_denorm_mode_32 3
		.amdhsa_float_denorm_mode_16_64 3
		.amdhsa_dx10_clamp 1
		.amdhsa_ieee_mode 1
		.amdhsa_fp16_overflow 0
		.amdhsa_exception_fp_ieee_invalid_op 0
		.amdhsa_exception_fp_denorm_src 0
		.amdhsa_exception_fp_ieee_div_zero 0
		.amdhsa_exception_fp_ieee_overflow 0
		.amdhsa_exception_fp_ieee_underflow 0
		.amdhsa_exception_fp_ieee_inexact 0
		.amdhsa_exception_int_div_zero 0
	.end_amdhsa_kernel
	.section	.text._ZN2at6native12_GLOBAL__N_125nll_loss2d_forward_kernelIddiEEvPT_S4_PKS3_PKlS6_iiil,"axG",@progbits,_ZN2at6native12_GLOBAL__N_125nll_loss2d_forward_kernelIddiEEvPT_S4_PKS3_PKlS6_iiil,comdat
.Lfunc_end4:
	.size	_ZN2at6native12_GLOBAL__N_125nll_loss2d_forward_kernelIddiEEvPT_S4_PKS3_PKlS6_iiil, .Lfunc_end4-_ZN2at6native12_GLOBAL__N_125nll_loss2d_forward_kernelIddiEEvPT_S4_PKS3_PKlS6_iiil
                                        ; -- End function
	.set _ZN2at6native12_GLOBAL__N_125nll_loss2d_forward_kernelIddiEEvPT_S4_PKS3_PKlS6_iiil.num_vgpr, 15
	.set _ZN2at6native12_GLOBAL__N_125nll_loss2d_forward_kernelIddiEEvPT_S4_PKS3_PKlS6_iiil.num_agpr, 0
	.set _ZN2at6native12_GLOBAL__N_125nll_loss2d_forward_kernelIddiEEvPT_S4_PKS3_PKlS6_iiil.numbered_sgpr, 42
	.set _ZN2at6native12_GLOBAL__N_125nll_loss2d_forward_kernelIddiEEvPT_S4_PKS3_PKlS6_iiil.num_named_barrier, 0
	.set _ZN2at6native12_GLOBAL__N_125nll_loss2d_forward_kernelIddiEEvPT_S4_PKS3_PKlS6_iiil.private_seg_size, 0
	.set _ZN2at6native12_GLOBAL__N_125nll_loss2d_forward_kernelIddiEEvPT_S4_PKS3_PKlS6_iiil.uses_vcc, 1
	.set _ZN2at6native12_GLOBAL__N_125nll_loss2d_forward_kernelIddiEEvPT_S4_PKS3_PKlS6_iiil.uses_flat_scratch, 0
	.set _ZN2at6native12_GLOBAL__N_125nll_loss2d_forward_kernelIddiEEvPT_S4_PKS3_PKlS6_iiil.has_dyn_sized_stack, 0
	.set _ZN2at6native12_GLOBAL__N_125nll_loss2d_forward_kernelIddiEEvPT_S4_PKS3_PKlS6_iiil.has_recursion, 0
	.set _ZN2at6native12_GLOBAL__N_125nll_loss2d_forward_kernelIddiEEvPT_S4_PKS3_PKlS6_iiil.has_indirect_call, 0
	.section	.AMDGPU.csdata,"",@progbits
; Kernel info:
; codeLenInByte = 2220
; TotalNumSgprs: 46
; NumVgprs: 15
; ScratchSize: 0
; MemoryBound: 0
; FloatMode: 240
; IeeeMode: 1
; LDSByteSize: 16384 bytes/workgroup (compile time only)
; SGPRBlocks: 8
; VGPRBlocks: 7
; NumSGPRsForWavesPerEU: 65
; NumVGPRsForWavesPerEU: 29
; Occupancy: 8
; WaveLimiterHint : 1
; COMPUTE_PGM_RSRC2:SCRATCH_EN: 0
; COMPUTE_PGM_RSRC2:USER_SGPR: 6
; COMPUTE_PGM_RSRC2:TRAP_HANDLER: 0
; COMPUTE_PGM_RSRC2:TGID_X_EN: 1
; COMPUTE_PGM_RSRC2:TGID_Y_EN: 0
; COMPUTE_PGM_RSRC2:TGID_Z_EN: 0
; COMPUTE_PGM_RSRC2:TIDIG_COMP_CNT: 0
	.section	.text._ZN2at6native12_GLOBAL__N_138nll_loss2d_forward_size_average_kernelIdEEvPT_PKS3_,"axG",@progbits,_ZN2at6native12_GLOBAL__N_138nll_loss2d_forward_size_average_kernelIdEEvPT_PKS3_,comdat
	.globl	_ZN2at6native12_GLOBAL__N_138nll_loss2d_forward_size_average_kernelIdEEvPT_PKS3_ ; -- Begin function _ZN2at6native12_GLOBAL__N_138nll_loss2d_forward_size_average_kernelIdEEvPT_PKS3_
	.p2align	8
	.type	_ZN2at6native12_GLOBAL__N_138nll_loss2d_forward_size_average_kernelIdEEvPT_PKS3_,@function
_ZN2at6native12_GLOBAL__N_138nll_loss2d_forward_size_average_kernelIdEEvPT_PKS3_: ; @_ZN2at6native12_GLOBAL__N_138nll_loss2d_forward_size_average_kernelIdEEvPT_PKS3_
; %bb.0:
	s_load_dwordx4 s[0:3], s[4:5], 0x0
	s_waitcnt lgkmcnt(0)
	s_load_dwordx2 s[4:5], s[0:1], 0x0
	s_load_dwordx2 s[6:7], s[2:3], 0x0
	s_waitcnt lgkmcnt(0)
	v_mov_b32_e32 v0, s4
	v_mov_b32_e32 v1, s5
	v_div_scale_f64 v[2:3], s[2:3], s[6:7], s[6:7], v[0:1]
	v_rcp_f64_e32 v[4:5], v[2:3]
	v_fma_f64 v[6:7], -v[2:3], v[4:5], 1.0
	v_fma_f64 v[4:5], v[4:5], v[6:7], v[4:5]
	v_mov_b32_e32 v6, s6
	v_mov_b32_e32 v7, s7
	v_div_scale_f64 v[6:7], vcc, s[4:5], v[6:7], s[4:5]
	v_fma_f64 v[8:9], -v[2:3], v[4:5], 1.0
	v_fma_f64 v[4:5], v[4:5], v[8:9], v[4:5]
	v_mul_f64 v[8:9], v[6:7], v[4:5]
	v_fma_f64 v[2:3], -v[2:3], v[8:9], v[6:7]
	v_div_fmas_f64 v[2:3], v[2:3], v[4:5], v[8:9]
	v_div_fixup_f64 v[0:1], v[2:3], s[6:7], v[0:1]
	v_mov_b32_e32 v2, 0
	global_store_dwordx2 v2, v[0:1], s[0:1]
	s_endpgm
	.section	.rodata,"a",@progbits
	.p2align	6, 0x0
	.amdhsa_kernel _ZN2at6native12_GLOBAL__N_138nll_loss2d_forward_size_average_kernelIdEEvPT_PKS3_
		.amdhsa_group_segment_fixed_size 0
		.amdhsa_private_segment_fixed_size 0
		.amdhsa_kernarg_size 16
		.amdhsa_user_sgpr_count 6
		.amdhsa_user_sgpr_private_segment_buffer 1
		.amdhsa_user_sgpr_dispatch_ptr 0
		.amdhsa_user_sgpr_queue_ptr 0
		.amdhsa_user_sgpr_kernarg_segment_ptr 1
		.amdhsa_user_sgpr_dispatch_id 0
		.amdhsa_user_sgpr_flat_scratch_init 0
		.amdhsa_user_sgpr_private_segment_size 0
		.amdhsa_uses_dynamic_stack 0
		.amdhsa_system_sgpr_private_segment_wavefront_offset 0
		.amdhsa_system_sgpr_workgroup_id_x 1
		.amdhsa_system_sgpr_workgroup_id_y 0
		.amdhsa_system_sgpr_workgroup_id_z 0
		.amdhsa_system_sgpr_workgroup_info 0
		.amdhsa_system_vgpr_workitem_id 0
		.amdhsa_next_free_vgpr 10
		.amdhsa_next_free_sgpr 8
		.amdhsa_reserve_vcc 1
		.amdhsa_reserve_flat_scratch 0
		.amdhsa_float_round_mode_32 0
		.amdhsa_float_round_mode_16_64 0
		.amdhsa_float_denorm_mode_32 3
		.amdhsa_float_denorm_mode_16_64 3
		.amdhsa_dx10_clamp 1
		.amdhsa_ieee_mode 1
		.amdhsa_fp16_overflow 0
		.amdhsa_exception_fp_ieee_invalid_op 0
		.amdhsa_exception_fp_denorm_src 0
		.amdhsa_exception_fp_ieee_div_zero 0
		.amdhsa_exception_fp_ieee_overflow 0
		.amdhsa_exception_fp_ieee_underflow 0
		.amdhsa_exception_fp_ieee_inexact 0
		.amdhsa_exception_int_div_zero 0
	.end_amdhsa_kernel
	.section	.text._ZN2at6native12_GLOBAL__N_138nll_loss2d_forward_size_average_kernelIdEEvPT_PKS3_,"axG",@progbits,_ZN2at6native12_GLOBAL__N_138nll_loss2d_forward_size_average_kernelIdEEvPT_PKS3_,comdat
.Lfunc_end5:
	.size	_ZN2at6native12_GLOBAL__N_138nll_loss2d_forward_size_average_kernelIdEEvPT_PKS3_, .Lfunc_end5-_ZN2at6native12_GLOBAL__N_138nll_loss2d_forward_size_average_kernelIdEEvPT_PKS3_
                                        ; -- End function
	.set _ZN2at6native12_GLOBAL__N_138nll_loss2d_forward_size_average_kernelIdEEvPT_PKS3_.num_vgpr, 10
	.set _ZN2at6native12_GLOBAL__N_138nll_loss2d_forward_size_average_kernelIdEEvPT_PKS3_.num_agpr, 0
	.set _ZN2at6native12_GLOBAL__N_138nll_loss2d_forward_size_average_kernelIdEEvPT_PKS3_.numbered_sgpr, 8
	.set _ZN2at6native12_GLOBAL__N_138nll_loss2d_forward_size_average_kernelIdEEvPT_PKS3_.num_named_barrier, 0
	.set _ZN2at6native12_GLOBAL__N_138nll_loss2d_forward_size_average_kernelIdEEvPT_PKS3_.private_seg_size, 0
	.set _ZN2at6native12_GLOBAL__N_138nll_loss2d_forward_size_average_kernelIdEEvPT_PKS3_.uses_vcc, 1
	.set _ZN2at6native12_GLOBAL__N_138nll_loss2d_forward_size_average_kernelIdEEvPT_PKS3_.uses_flat_scratch, 0
	.set _ZN2at6native12_GLOBAL__N_138nll_loss2d_forward_size_average_kernelIdEEvPT_PKS3_.has_dyn_sized_stack, 0
	.set _ZN2at6native12_GLOBAL__N_138nll_loss2d_forward_size_average_kernelIdEEvPT_PKS3_.has_recursion, 0
	.set _ZN2at6native12_GLOBAL__N_138nll_loss2d_forward_size_average_kernelIdEEvPT_PKS3_.has_indirect_call, 0
	.section	.AMDGPU.csdata,"",@progbits
; Kernel info:
; codeLenInByte = 148
; TotalNumSgprs: 12
; NumVgprs: 10
; ScratchSize: 0
; MemoryBound: 1
; FloatMode: 240
; IeeeMode: 1
; LDSByteSize: 0 bytes/workgroup (compile time only)
; SGPRBlocks: 1
; VGPRBlocks: 2
; NumSGPRsForWavesPerEU: 12
; NumVGPRsForWavesPerEU: 10
; Occupancy: 10
; WaveLimiterHint : 1
; COMPUTE_PGM_RSRC2:SCRATCH_EN: 0
; COMPUTE_PGM_RSRC2:USER_SGPR: 6
; COMPUTE_PGM_RSRC2:TRAP_HANDLER: 0
; COMPUTE_PGM_RSRC2:TGID_X_EN: 1
; COMPUTE_PGM_RSRC2:TGID_Y_EN: 0
; COMPUTE_PGM_RSRC2:TGID_Z_EN: 0
; COMPUTE_PGM_RSRC2:TIDIG_COMP_CNT: 0
	.section	.text._ZN2at6native12_GLOBAL__N_125nll_loss2d_forward_kernelIddlEEvPT_S4_PKS3_PKlS6_iiil,"axG",@progbits,_ZN2at6native12_GLOBAL__N_125nll_loss2d_forward_kernelIddlEEvPT_S4_PKS3_PKlS6_iiil,comdat
	.globl	_ZN2at6native12_GLOBAL__N_125nll_loss2d_forward_kernelIddlEEvPT_S4_PKS3_PKlS6_iiil ; -- Begin function _ZN2at6native12_GLOBAL__N_125nll_loss2d_forward_kernelIddlEEvPT_S4_PKS3_PKlS6_iiil
	.p2align	8
	.type	_ZN2at6native12_GLOBAL__N_125nll_loss2d_forward_kernelIddlEEvPT_S4_PKS3_PKlS6_iiil,@function
_ZN2at6native12_GLOBAL__N_125nll_loss2d_forward_kernelIddlEEvPT_S4_PKS3_PKlS6_iiil: ; @_ZN2at6native12_GLOBAL__N_125nll_loss2d_forward_kernelIddlEEvPT_S4_PKS3_PKlS6_iiil
; %bb.0:
	s_load_dwordx4 s[16:19], s[4:5], 0x28
	s_load_dwordx2 s[22:23], s[4:5], 0x20
	s_load_dwordx8 s[8:15], s[4:5], 0x0
	s_load_dword s3, s[4:5], 0x4c
	v_mov_b32_e32 v4, 0
	v_mov_b32_e32 v8, 0
	s_waitcnt lgkmcnt(0)
	v_cvt_f32_u32_e32 v1, s18
	s_sub_i32 s2, 0, s18
	s_mov_b64 s[0:1], -1
	s_mov_b64 s[20:21], 0
	v_rcp_iflag_f32_e32 v1, v1
	v_mov_b32_e32 v5, 0
	v_mov_b32_e32 v9, 0
	v_mul_f32_e32 v1, 0x4f7ffffe, v1
	v_cvt_u32_f32_e32 v1, v1
	v_readfirstlane_b32 s7, v1
	s_mul_i32 s2, s2, s7
	s_mul_hi_u32 s2, s7, s2
	s_add_i32 s7, s7, s2
	s_mul_hi_u32 s2, s6, s7
	s_mul_i32 s7, s2, s18
	s_sub_i32 s7, s6, s7
	s_add_i32 s19, s2, 1
	s_sub_i32 s24, s7, s18
	s_cmp_ge_u32 s7, s18
	s_cselect_b32 s2, s19, s2
	s_cselect_b32 s7, s24, s7
	s_add_i32 s19, s2, 1
	s_cmp_ge_u32 s7, s18
	s_cselect_b32 s2, s19, s2
	s_and_b32 s33, s3, 0xffff
	s_mul_i32 s3, s2, s18
	s_sub_i32 s3, s6, s3
	s_mul_i32 s3, s3, s33
	v_add_u32_e32 v1, s3, v0
	v_cmp_gt_i32_e32 vcc, s17, v1
	s_mov_b64 s[6:7], 0
	s_and_saveexec_b64 s[24:25], vcc
	s_cbranch_execnz .LBB6_6
; %bb.1:
	s_or_b64 exec, exec, s[24:25]
	s_and_saveexec_b64 s[2:3], s[0:1]
	s_xor_b64 s[4:5], exec, s[2:3]
	s_cbranch_execnz .LBB6_22
.LBB6_2:
	s_or_b64 exec, exec, s[4:5]
	s_mov_b64 s[0:1], 0
	s_and_saveexec_b64 s[2:3], s[20:21]
	s_cbranch_execnz .LBB6_48
.LBB6_3:
	s_or_b64 exec, exec, s[2:3]
	s_and_saveexec_b64 s[2:3], s[6:7]
	s_cbranch_execnz .LBB6_49
.LBB6_4:
	s_or_b64 exec, exec, s[2:3]
	s_and_saveexec_b64 s[2:3], s[0:1]
	s_cbranch_execnz .LBB6_50
.LBB6_5:
	s_endpgm
.LBB6_6:
	s_ashr_i32 s38, s17, 31
	s_mul_hi_u32 s0, s2, s17
	s_mul_i32 s1, s2, s38
	s_mov_b32 s39, s17
	s_add_i32 s1, s0, s1
	s_mul_i32 s0, s2, s17
	s_ashr_i32 s17, s16, 31
	s_cmp_lg_u64 s[22:23], 0
	s_cselect_b64 s[2:3], -1, 0
	s_lshl_b64 s[20:21], s[0:1], 3
	v_ashrrev_i32_e32 v2, 31, v1
	v_lshlrev_b64 v[4:5], 3, v[1:2]
	s_add_u32 s14, s14, s20
	s_addc_u32 s15, s15, s21
	v_mov_b32_e32 v3, s15
	v_add_co_u32_e32 v4, vcc, s14, v4
	v_addc_co_u32_e32 v5, vcc, v3, v5, vcc
	v_mov_b32_e32 v3, s16
	s_load_dwordx2 s[4:5], s[4:5], 0x38
	v_mad_u64_u32 v[8:9], s[20:21], s0, v3, v[1:2]
	s_mul_i32 s18, s18, s33
	s_mul_i32 s0, s0, s17
	;; [unrolled: 1-line block ×3, first 2 shown]
	s_ashr_i32 s19, s18, 31
	s_add_i32 s0, s0, s1
	v_mov_b32_e32 v2, 0
	v_cndmask_b32_e64 v10, 0, 1, s[2:3]
	v_mov_b32_e32 v6, 0
	s_lshl_b64 s[14:15], s[18:19], 3
	v_add_u32_e32 v9, s0, v9
	v_mov_b32_e32 v3, 0
	v_mov_b32_e32 v7, 0
	v_cmp_ne_u32_e64 s[0:1], 1, v10
                                        ; implicit-def: $sgpr26_sgpr27
                                        ; implicit-def: $sgpr20_sgpr21
	s_branch .LBB6_8
.LBB6_7:                                ;   in Loop: Header=BB6_8 Depth=1
	s_or_b64 exec, exec, s[28:29]
	s_xor_b64 s[28:29], s[30:31], -1
	s_xor_b64 s[2:3], s[2:3], -1
	s_and_b64 s[30:31], exec, s[36:37]
	s_or_b64 s[6:7], s[30:31], s[6:7]
	s_andn2_b64 s[20:21], s[20:21], exec
	s_and_b64 s[28:29], s[28:29], exec
	s_andn2_b64 s[26:27], s[26:27], exec
	s_and_b64 s[2:3], s[2:3], exec
	s_or_b64 s[20:21], s[20:21], s[28:29]
	s_or_b64 s[26:27], s[26:27], s[2:3]
	s_andn2_b64 exec, exec, s[6:7]
	s_cbranch_execz .LBB6_19
.LBB6_8:                                ; =>This Inner Loop Header: Depth=1
	global_load_dwordx2 v[10:11], v[4:5], off
	s_mov_b64 s[34:35], -1
                                        ; implicit-def: $sgpr2_sgpr3
                                        ; implicit-def: $sgpr30_sgpr31
	s_waitcnt vmcnt(0) lgkmcnt(0)
	v_cmp_ne_u64_e32 vcc, s[4:5], v[10:11]
	s_and_saveexec_b64 s[28:29], vcc
	s_cbranch_execz .LBB6_17
; %bb.9:                                ;   in Loop: Header=BB6_8 Depth=1
	v_cmp_lt_i64_e32 vcc, -1, v[10:11]
	v_cmp_gt_i64_e64 s[2:3], s[16:17], v[10:11]
	s_mov_b64 s[36:37], 0
	s_and_b64 s[40:41], vcc, s[2:3]
	s_mov_b64 s[2:3], -1
	s_mov_b64 s[30:31], 0
	s_and_saveexec_b64 s[34:35], s[40:41]
	s_cbranch_execz .LBB6_16
; %bb.10:                               ;   in Loop: Header=BB6_8 Depth=1
	s_and_b64 vcc, exec, s[0:1]
	s_cbranch_vccnz .LBB6_12
; %bb.11:                               ;   in Loop: Header=BB6_8 Depth=1
	v_lshlrev_b64 v[12:13], 3, v[10:11]
	v_mov_b32_e32 v14, s23
	v_add_co_u32_e32 v12, vcc, s22, v12
	v_addc_co_u32_e32 v13, vcc, v14, v13, vcc
	global_load_dwordx2 v[12:13], v[12:13], off
	s_branch .LBB6_13
.LBB6_12:                               ;   in Loop: Header=BB6_8 Depth=1
	v_mov_b32_e32 v12, 0
	v_mov_b32_e32 v13, 0x3ff00000
.LBB6_13:                               ;   in Loop: Header=BB6_8 Depth=1
	v_mad_u64_u32 v[14:15], s[2:3], v10, s39, v[8:9]
	v_mul_lo_u32 v10, v10, s38
	v_mul_lo_u32 v11, v11, s39
	v_add3_u32 v15, v11, v15, v10
	v_cmp_lt_i64_e32 vcc, -1, v[14:15]
	s_and_saveexec_b64 s[2:3], vcc
	s_cbranch_execz .LBB6_15
; %bb.14:                               ;   in Loop: Header=BB6_8 Depth=1
	v_lshlrev_b64 v[10:11], 3, v[14:15]
	v_mov_b32_e32 v14, s13
	v_add_co_u32_e32 v10, vcc, s12, v10
	v_addc_co_u32_e32 v11, vcc, v14, v11, vcc
	global_load_dwordx2 v[10:11], v[10:11], off
	s_waitcnt vmcnt(1)
	v_add_f64 v[6:7], v[6:7], v[12:13]
	s_mov_b64 s[36:37], exec
	s_waitcnt vmcnt(0)
	v_fma_f64 v[2:3], -v[12:13], v[10:11], v[2:3]
.LBB6_15:                               ;   in Loop: Header=BB6_8 Depth=1
	s_or_b64 exec, exec, s[2:3]
	s_mov_b64 s[30:31], exec
	s_xor_b64 s[2:3], exec, -1
	s_and_b64 s[36:37], s[36:37], exec
.LBB6_16:                               ;   in Loop: Header=BB6_8 Depth=1
	s_or_b64 exec, exec, s[34:35]
	s_orn2_b64 s[34:35], s[36:37], exec
.LBB6_17:                               ;   in Loop: Header=BB6_8 Depth=1
	s_or_b64 exec, exec, s[28:29]
	s_mov_b64 s[36:37], -1
	s_and_saveexec_b64 s[28:29], s[34:35]
	s_cbranch_execz .LBB6_7
; %bb.18:                               ;   in Loop: Header=BB6_8 Depth=1
	v_mov_b32_e32 v10, s15
	v_add_co_u32_e32 v4, vcc, s14, v4
	v_addc_co_u32_e32 v5, vcc, v5, v10, vcc
	v_mov_b32_e32 v10, s19
	v_add_co_u32_e32 v8, vcc, s18, v8
	v_add_u32_e32 v1, s18, v1
	v_addc_co_u32_e32 v9, vcc, v9, v10, vcc
	v_cmp_le_i32_e32 vcc, s39, v1
	s_andn2_b64 s[30:31], s[30:31], exec
	s_andn2_b64 s[2:3], s[2:3], exec
	s_orn2_b64 s[36:37], vcc, exec
	s_branch .LBB6_7
.LBB6_19:
	s_or_b64 exec, exec, s[6:7]
	v_mov_b32_e32 v4, 0
	v_mov_b32_e32 v8, 0
	s_mov_b64 s[0:1], 0
	s_mov_b64 s[2:3], -1
	v_mov_b32_e32 v5, 0
	v_mov_b32_e32 v9, 0
	s_mov_b64 s[4:5], 0
	s_and_saveexec_b64 s[6:7], s[26:27]
	s_xor_b64 s[6:7], exec, s[6:7]
; %bb.20:
	v_mov_b32_e32 v5, v3
	v_mov_b32_e32 v9, v7
	s_mov_b64 s[4:5], exec
	s_xor_b64 s[2:3], exec, -1
	s_and_b64 s[0:1], s[20:21], exec
	v_mov_b32_e32 v4, v2
	v_mov_b32_e32 v8, v6
; %bb.21:
	s_or_b64 exec, exec, s[6:7]
	s_and_b64 s[6:7], s[2:3], exec
	s_and_b64 s[20:21], s[4:5], exec
	s_orn2_b64 s[0:1], s[0:1], exec
	s_or_b64 exec, exec, s[24:25]
	s_and_saveexec_b64 s[2:3], s[0:1]
	s_xor_b64 s[4:5], exec, s[2:3]
	s_cbranch_execz .LBB6_2
.LBB6_22:
	v_mbcnt_lo_u32_b32 v1, -1, 0
	s_waitcnt vmcnt(0)
	v_mbcnt_hi_u32_b32 v13, -1, v1
	v_mov_b32_e32 v1, 0x80
	v_lshl_or_b32 v10, v13, 2, v1
	ds_bpermute_b32 v1, v10, v8
	ds_bpermute_b32 v2, v10, v9
	v_and_b32_e32 v14, 63, v13
	v_cmp_gt_u32_e32 vcc, 48, v14
	v_cndmask_b32_e64 v3, 0, 16, vcc
	v_cmp_gt_u32_e32 vcc, 56, v14
	s_waitcnt lgkmcnt(0)
	v_add_f64 v[1:2], v[8:9], v[1:2]
	v_add_lshl_u32 v8, v3, v13, 2
	v_cndmask_b32_e64 v3, 0, 8, vcc
	v_add_lshl_u32 v9, v3, v13, 2
	v_cmp_gt_u32_e32 vcc, 60, v14
	v_cndmask_b32_e64 v3, 0, 4, vcc
	v_add_lshl_u32 v11, v3, v13, 2
	v_cmp_gt_u32_e32 vcc, 62, v14
	ds_bpermute_b32 v6, v8, v1
	ds_bpermute_b32 v7, v8, v2
	v_cndmask_b32_e64 v3, 0, 2, vcc
	v_add_lshl_u32 v12, v3, v13, 2
	v_cmp_ne_u32_e32 vcc, 63, v14
	v_and_b32_e32 v3, 63, v0
	s_waitcnt lgkmcnt(0)
	v_add_f64 v[1:2], v[1:2], v[6:7]
	v_lshrrev_b32_e32 v14, 3, v0
	s_barrier
	ds_bpermute_b32 v6, v9, v1
	ds_bpermute_b32 v7, v9, v2
	s_waitcnt lgkmcnt(0)
	v_add_f64 v[1:2], v[1:2], v[6:7]
	ds_bpermute_b32 v6, v11, v1
	ds_bpermute_b32 v7, v11, v2
	s_waitcnt lgkmcnt(0)
	v_add_f64 v[1:2], v[1:2], v[6:7]
	;; [unrolled: 4-line block ×3, first 2 shown]
	v_addc_co_u32_e32 v6, vcc, 0, v13, vcc
	v_lshlrev_b32_e32 v13, 2, v6
	v_cmp_eq_u32_e32 vcc, 0, v3
	ds_bpermute_b32 v6, v13, v1
	ds_bpermute_b32 v7, v13, v2
	s_and_saveexec_b64 s[0:1], vcc
	s_cbranch_execz .LBB6_24
; %bb.23:
	s_waitcnt lgkmcnt(0)
	v_add_f64 v[1:2], v[1:2], v[6:7]
	ds_write_b64 v14, v[1:2] offset:8192
.LBB6_24:
	s_or_b64 exec, exec, s[0:1]
	s_lshr_b32 s0, s33, 6
	v_mov_b32_e32 v1, 0
	v_cmp_gt_u32_e64 s[0:1], s0, v0
	v_mov_b32_e32 v2, 0
	s_waitcnt lgkmcnt(0)
	v_lshlrev_b32_e32 v7, 3, v3
	s_barrier
	s_and_saveexec_b64 s[2:3], s[0:1]
; %bb.25:
	ds_read_b64 v[1:2], v7 offset:8192
; %bb.26:
	s_or_b64 exec, exec, s[2:3]
	v_cmp_gt_u32_e64 s[2:3], 64, v0
	s_and_saveexec_b64 s[12:13], s[2:3]
	s_cbranch_execz .LBB6_28
; %bb.27:
	s_waitcnt lgkmcnt(0)
	ds_bpermute_b32 v15, v10, v1
	ds_bpermute_b32 v16, v10, v2
	s_waitcnt lgkmcnt(0)
	v_add_f64 v[1:2], v[1:2], v[15:16]
	ds_bpermute_b32 v15, v8, v1
	ds_bpermute_b32 v16, v8, v2
	s_waitcnt lgkmcnt(0)
	v_add_f64 v[1:2], v[1:2], v[15:16]
	;; [unrolled: 4-line block ×6, first 2 shown]
.LBB6_28:
	s_or_b64 exec, exec, s[12:13]
	ds_bpermute_b32 v15, v10, v4
	ds_bpermute_b32 v16, v10, v5
	s_waitcnt lgkmcnt(0)
	s_barrier
	v_add_f64 v[3:4], v[4:5], v[15:16]
	ds_bpermute_b32 v5, v8, v3
	ds_bpermute_b32 v6, v8, v4
	s_waitcnt lgkmcnt(0)
	v_add_f64 v[3:4], v[3:4], v[5:6]
	ds_bpermute_b32 v5, v9, v3
	ds_bpermute_b32 v6, v9, v4
	s_waitcnt lgkmcnt(0)
	v_add_f64 v[3:4], v[3:4], v[5:6]
	ds_bpermute_b32 v5, v11, v3
	ds_bpermute_b32 v6, v11, v4
	s_waitcnt lgkmcnt(0)
	v_add_f64 v[3:4], v[3:4], v[5:6]
	ds_bpermute_b32 v5, v12, v3
	ds_bpermute_b32 v6, v12, v4
	s_waitcnt lgkmcnt(0)
	v_add_f64 v[3:4], v[3:4], v[5:6]
	ds_bpermute_b32 v5, v13, v3
	ds_bpermute_b32 v6, v13, v4
	s_and_saveexec_b64 s[12:13], vcc
	s_cbranch_execz .LBB6_30
; %bb.29:
	s_waitcnt lgkmcnt(0)
	v_add_f64 v[3:4], v[3:4], v[5:6]
	ds_write_b64 v14, v[3:4]
.LBB6_30:
	s_or_b64 exec, exec, s[12:13]
	s_waitcnt lgkmcnt(1)
	v_mov_b32_e32 v4, 0
	v_mov_b32_e32 v5, 0
	s_waitcnt lgkmcnt(0)
	s_barrier
	s_and_saveexec_b64 s[12:13], s[0:1]
	s_cbranch_execnz .LBB6_33
; %bb.31:
	s_or_b64 exec, exec, s[12:13]
	s_and_saveexec_b64 s[0:1], s[2:3]
	s_cbranch_execnz .LBB6_34
.LBB6_32:
	s_or_b64 exec, exec, s[0:1]
	v_cmp_eq_u32_e32 vcc, 0, v0
	s_and_saveexec_b64 s[0:1], vcc
	s_cbranch_execnz .LBB6_35
	s_branch .LBB6_47
.LBB6_33:
	ds_read_b64 v[4:5], v7
	s_or_b64 exec, exec, s[12:13]
	s_and_saveexec_b64 s[0:1], s[2:3]
	s_cbranch_execz .LBB6_32
.LBB6_34:
	s_waitcnt lgkmcnt(0)
	ds_bpermute_b32 v6, v10, v4
	ds_bpermute_b32 v7, v10, v5
	s_waitcnt lgkmcnt(0)
	v_add_f64 v[3:4], v[4:5], v[6:7]
	ds_bpermute_b32 v5, v8, v3
	ds_bpermute_b32 v6, v8, v4
	s_waitcnt lgkmcnt(0)
	v_add_f64 v[3:4], v[3:4], v[5:6]
	;; [unrolled: 4-line block ×6, first 2 shown]
	s_or_b64 exec, exec, s[0:1]
	v_cmp_eq_u32_e32 vcc, 0, v0
	s_and_saveexec_b64 s[0:1], vcc
	s_cbranch_execz .LBB6_47
.LBB6_35:
	v_mov_b32_e32 v6, 0
	s_mov_b64 s[2:3], exec
	v_bfrev_b32_e32 v7, 1
.LBB6_36:                               ; =>This Inner Loop Header: Depth=1
	s_ff1_i32_b64 s14, s[2:3]
	v_readlane_b32 s13, v2, s14
	v_readlane_b32 s12, v1, s14
	v_add_f64 v[6:7], v[6:7], s[12:13]
	s_lshl_b64 s[12:13], 1, s14
	s_andn2_b64 s[2:3], s[2:3], s[12:13]
	s_cmp_lg_u64 s[2:3], 0
	s_cbranch_scc1 .LBB6_36
; %bb.37:
	v_mbcnt_lo_u32_b32 v0, exec_lo, 0
	v_mbcnt_hi_u32_b32 v0, exec_hi, v0
	v_cmp_eq_u32_e32 vcc, 0, v0
	s_and_saveexec_b64 s[2:3], vcc
	s_xor_b64 s[2:3], exec, s[2:3]
	s_cbranch_execz .LBB6_41
; %bb.38:
	s_load_dwordx2 s[14:15], s[10:11], 0x0
	s_mov_b64 s[12:13], 0
	v_mov_b32_e32 v8, 0
	s_waitcnt lgkmcnt(0)
	v_mov_b32_e32 v2, s14
	v_mov_b32_e32 v3, s15
.LBB6_39:                               ; =>This Inner Loop Header: Depth=1
	v_add_f64 v[0:1], v[2:3], v[6:7]
	global_atomic_cmpswap_x2 v[0:1], v8, v[0:3], s[10:11] glc
	s_waitcnt vmcnt(0)
	v_cmp_eq_u64_e32 vcc, v[0:1], v[2:3]
	v_mov_b32_e32 v3, v1
	s_or_b64 s[12:13], vcc, s[12:13]
	v_mov_b32_e32 v2, v0
	s_andn2_b64 exec, exec, s[12:13]
	s_cbranch_execnz .LBB6_39
; %bb.40:
	s_or_b64 exec, exec, s[12:13]
.LBB6_41:
	s_or_b64 exec, exec, s[2:3]
	v_mov_b32_e32 v6, 0
	s_mov_b64 s[2:3], exec
	v_bfrev_b32_e32 v7, 1
.LBB6_42:                               ; =>This Inner Loop Header: Depth=1
	s_ff1_i32_b64 s12, s[2:3]
	s_waitcnt lgkmcnt(0)
	v_readlane_b32 s11, v5, s12
	v_readlane_b32 s10, v4, s12
	v_add_f64 v[6:7], v[6:7], s[10:11]
	s_lshl_b64 s[10:11], 1, s12
	s_andn2_b64 s[2:3], s[2:3], s[10:11]
	s_cmp_lg_u64 s[2:3], 0
	s_cbranch_scc1 .LBB6_42
; %bb.43:
	v_mbcnt_lo_u32_b32 v0, exec_lo, 0
	v_mbcnt_hi_u32_b32 v0, exec_hi, v0
	v_cmp_eq_u32_e32 vcc, 0, v0
	s_and_saveexec_b64 s[2:3], vcc
	s_xor_b64 s[2:3], exec, s[2:3]
	s_cbranch_execz .LBB6_47
; %bb.44:
	v_mov_b32_e32 v4, 0
	global_load_dwordx2 v[2:3], v4, s[8:9]
	s_mov_b64 s[2:3], 0
.LBB6_45:                               ; =>This Inner Loop Header: Depth=1
	s_waitcnt vmcnt(0)
	v_add_f64 v[0:1], v[2:3], v[6:7]
	global_atomic_cmpswap_x2 v[0:1], v4, v[0:3], s[8:9] glc
	s_waitcnt vmcnt(0)
	v_cmp_eq_u64_e32 vcc, v[0:1], v[2:3]
	v_mov_b32_e32 v3, v1
	s_or_b64 s[2:3], vcc, s[2:3]
	v_mov_b32_e32 v2, v0
	s_andn2_b64 exec, exec, s[2:3]
	s_cbranch_execnz .LBB6_45
; %bb.46:
	s_or_b64 exec, exec, s[2:3]
.LBB6_47:
	s_or_b64 exec, exec, s[0:1]
	s_andn2_b64 s[20:21], s[20:21], exec
	s_or_b64 exec, exec, s[4:5]
	s_mov_b64 s[0:1], 0
	s_and_saveexec_b64 s[2:3], s[20:21]
	s_cbranch_execz .LBB6_3
.LBB6_48:
	s_mov_b64 s[0:1], exec
	s_trap 2
	s_or_b64 exec, exec, s[2:3]
	s_and_saveexec_b64 s[2:3], s[6:7]
	s_cbranch_execz .LBB6_4
.LBB6_49:
	s_or_b64 s[0:1], s[0:1], exec
	s_trap 2
	s_or_b64 exec, exec, s[2:3]
	s_and_saveexec_b64 s[2:3], s[0:1]
	s_cbranch_execz .LBB6_5
.LBB6_50:
	; divergent unreachable
	s_endpgm
	.section	.rodata,"a",@progbits
	.p2align	6, 0x0
	.amdhsa_kernel _ZN2at6native12_GLOBAL__N_125nll_loss2d_forward_kernelIddlEEvPT_S4_PKS3_PKlS6_iiil
		.amdhsa_group_segment_fixed_size 16384
		.amdhsa_private_segment_fixed_size 0
		.amdhsa_kernarg_size 320
		.amdhsa_user_sgpr_count 6
		.amdhsa_user_sgpr_private_segment_buffer 1
		.amdhsa_user_sgpr_dispatch_ptr 0
		.amdhsa_user_sgpr_queue_ptr 0
		.amdhsa_user_sgpr_kernarg_segment_ptr 1
		.amdhsa_user_sgpr_dispatch_id 0
		.amdhsa_user_sgpr_flat_scratch_init 0
		.amdhsa_user_sgpr_private_segment_size 0
		.amdhsa_uses_dynamic_stack 0
		.amdhsa_system_sgpr_private_segment_wavefront_offset 0
		.amdhsa_system_sgpr_workgroup_id_x 1
		.amdhsa_system_sgpr_workgroup_id_y 0
		.amdhsa_system_sgpr_workgroup_id_z 0
		.amdhsa_system_sgpr_workgroup_info 0
		.amdhsa_system_vgpr_workitem_id 0
		.amdhsa_next_free_vgpr 29
		.amdhsa_next_free_sgpr 61
		.amdhsa_reserve_vcc 1
		.amdhsa_reserve_flat_scratch 0
		.amdhsa_float_round_mode_32 0
		.amdhsa_float_round_mode_16_64 0
		.amdhsa_float_denorm_mode_32 3
		.amdhsa_float_denorm_mode_16_64 3
		.amdhsa_dx10_clamp 1
		.amdhsa_ieee_mode 1
		.amdhsa_fp16_overflow 0
		.amdhsa_exception_fp_ieee_invalid_op 0
		.amdhsa_exception_fp_denorm_src 0
		.amdhsa_exception_fp_ieee_div_zero 0
		.amdhsa_exception_fp_ieee_overflow 0
		.amdhsa_exception_fp_ieee_underflow 0
		.amdhsa_exception_fp_ieee_inexact 0
		.amdhsa_exception_int_div_zero 0
	.end_amdhsa_kernel
	.section	.text._ZN2at6native12_GLOBAL__N_125nll_loss2d_forward_kernelIddlEEvPT_S4_PKS3_PKlS6_iiil,"axG",@progbits,_ZN2at6native12_GLOBAL__N_125nll_loss2d_forward_kernelIddlEEvPT_S4_PKS3_PKlS6_iiil,comdat
.Lfunc_end6:
	.size	_ZN2at6native12_GLOBAL__N_125nll_loss2d_forward_kernelIddlEEvPT_S4_PKS3_PKlS6_iiil, .Lfunc_end6-_ZN2at6native12_GLOBAL__N_125nll_loss2d_forward_kernelIddlEEvPT_S4_PKS3_PKlS6_iiil
                                        ; -- End function
	.set _ZN2at6native12_GLOBAL__N_125nll_loss2d_forward_kernelIddlEEvPT_S4_PKS3_PKlS6_iiil.num_vgpr, 17
	.set _ZN2at6native12_GLOBAL__N_125nll_loss2d_forward_kernelIddlEEvPT_S4_PKS3_PKlS6_iiil.num_agpr, 0
	.set _ZN2at6native12_GLOBAL__N_125nll_loss2d_forward_kernelIddlEEvPT_S4_PKS3_PKlS6_iiil.numbered_sgpr, 42
	.set _ZN2at6native12_GLOBAL__N_125nll_loss2d_forward_kernelIddlEEvPT_S4_PKS3_PKlS6_iiil.num_named_barrier, 0
	.set _ZN2at6native12_GLOBAL__N_125nll_loss2d_forward_kernelIddlEEvPT_S4_PKS3_PKlS6_iiil.private_seg_size, 0
	.set _ZN2at6native12_GLOBAL__N_125nll_loss2d_forward_kernelIddlEEvPT_S4_PKS3_PKlS6_iiil.uses_vcc, 1
	.set _ZN2at6native12_GLOBAL__N_125nll_loss2d_forward_kernelIddlEEvPT_S4_PKS3_PKlS6_iiil.uses_flat_scratch, 0
	.set _ZN2at6native12_GLOBAL__N_125nll_loss2d_forward_kernelIddlEEvPT_S4_PKS3_PKlS6_iiil.has_dyn_sized_stack, 0
	.set _ZN2at6native12_GLOBAL__N_125nll_loss2d_forward_kernelIddlEEvPT_S4_PKS3_PKlS6_iiil.has_recursion, 0
	.set _ZN2at6native12_GLOBAL__N_125nll_loss2d_forward_kernelIddlEEvPT_S4_PKS3_PKlS6_iiil.has_indirect_call, 0
	.section	.AMDGPU.csdata,"",@progbits
; Kernel info:
; codeLenInByte = 2288
; TotalNumSgprs: 46
; NumVgprs: 17
; ScratchSize: 0
; MemoryBound: 0
; FloatMode: 240
; IeeeMode: 1
; LDSByteSize: 16384 bytes/workgroup (compile time only)
; SGPRBlocks: 8
; VGPRBlocks: 7
; NumSGPRsForWavesPerEU: 65
; NumVGPRsForWavesPerEU: 29
; Occupancy: 8
; WaveLimiterHint : 1
; COMPUTE_PGM_RSRC2:SCRATCH_EN: 0
; COMPUTE_PGM_RSRC2:USER_SGPR: 6
; COMPUTE_PGM_RSRC2:TRAP_HANDLER: 0
; COMPUTE_PGM_RSRC2:TGID_X_EN: 1
; COMPUTE_PGM_RSRC2:TGID_Y_EN: 0
; COMPUTE_PGM_RSRC2:TGID_Z_EN: 0
; COMPUTE_PGM_RSRC2:TIDIG_COMP_CNT: 0
	.section	.text._ZN2at6native12_GLOBAL__N_125nll_loss2d_forward_kernelIffiEEvPT_S4_PKS3_PKlS6_iiil,"axG",@progbits,_ZN2at6native12_GLOBAL__N_125nll_loss2d_forward_kernelIffiEEvPT_S4_PKS3_PKlS6_iiil,comdat
	.globl	_ZN2at6native12_GLOBAL__N_125nll_loss2d_forward_kernelIffiEEvPT_S4_PKS3_PKlS6_iiil ; -- Begin function _ZN2at6native12_GLOBAL__N_125nll_loss2d_forward_kernelIffiEEvPT_S4_PKS3_PKlS6_iiil
	.p2align	8
	.type	_ZN2at6native12_GLOBAL__N_125nll_loss2d_forward_kernelIffiEEvPT_S4_PKS3_PKlS6_iiil,@function
_ZN2at6native12_GLOBAL__N_125nll_loss2d_forward_kernelIffiEEvPT_S4_PKS3_PKlS6_iiil: ; @_ZN2at6native12_GLOBAL__N_125nll_loss2d_forward_kernelIffiEEvPT_S4_PKS3_PKlS6_iiil
; %bb.0:
	s_load_dwordx4 s[16:19], s[4:5], 0x28
	s_load_dwordx2 s[24:25], s[4:5], 0x20
	s_load_dwordx8 s[8:15], s[4:5], 0x0
	s_load_dword s2, s[4:5], 0x4c
	s_mov_b64 s[0:1], -1
	s_mov_b64 s[22:23], 0
	s_waitcnt lgkmcnt(0)
	v_cvt_f32_u32_e32 v1, s18
	s_sub_i32 s3, 0, s18
	s_mov_b64 s[20:21], 0
	v_mov_b32_e32 v3, 0
	v_rcp_iflag_f32_e32 v2, v1
	v_mov_b32_e32 v1, 0
	v_mul_f32_e32 v2, 0x4f7ffffe, v2
	v_cvt_u32_f32_e32 v2, v2
	v_readfirstlane_b32 s7, v2
	s_mul_i32 s3, s3, s7
	s_mul_hi_u32 s3, s7, s3
	s_add_i32 s7, s7, s3
	s_mul_hi_u32 s3, s6, s7
	s_mul_i32 s7, s3, s18
	s_sub_i32 s7, s6, s7
	s_add_i32 s19, s3, 1
	s_sub_i32 s26, s7, s18
	s_cmp_ge_u32 s7, s18
	s_cselect_b32 s3, s19, s3
	s_cselect_b32 s7, s26, s7
	s_add_i32 s19, s3, 1
	s_cmp_ge_u32 s7, s18
	s_cselect_b32 s3, s19, s3
	s_and_b32 s33, s2, 0xffff
	s_mul_i32 s2, s3, s18
	s_sub_i32 s2, s6, s2
	s_mul_i32 s2, s2, s33
	v_add_u32_e32 v7, s2, v0
	v_cmp_gt_i32_e32 vcc, s17, v7
	s_and_saveexec_b64 s[6:7], vcc
	s_cbranch_execnz .LBB7_6
; %bb.1:
	s_or_b64 exec, exec, s[6:7]
	s_and_saveexec_b64 s[2:3], s[0:1]
	s_xor_b64 s[4:5], exec, s[2:3]
	s_cbranch_execnz .LBB7_22
.LBB7_2:
	s_or_b64 exec, exec, s[4:5]
	s_mov_b64 s[0:1], 0
	s_and_saveexec_b64 s[2:3], s[22:23]
	s_cbranch_execnz .LBB7_48
.LBB7_3:
	s_or_b64 exec, exec, s[2:3]
	s_and_saveexec_b64 s[2:3], s[20:21]
	s_cbranch_execnz .LBB7_49
.LBB7_4:
	s_or_b64 exec, exec, s[2:3]
	s_and_saveexec_b64 s[2:3], s[0:1]
	s_cbranch_execnz .LBB7_50
.LBB7_5:
	s_endpgm
.LBB7_6:
	s_mul_i32 s3, s3, s17
	s_cmp_lg_u64 s[24:25], 0
	s_cselect_b64 s[0:1], -1, 0
	s_add_i32 s2, s2, s3
	v_add_u32_e32 v1, s2, v0
	v_ashrrev_i32_e32 v2, 31, v1
	s_load_dwordx2 s[4:5], s[4:5], 0x38
	v_lshlrev_b64 v[1:2], 3, v[1:2]
	s_mul_i32 s20, s18, s33
	v_mov_b32_e32 v3, s15
	v_add_co_u32_e32 v1, vcc, s14, v1
	v_addc_co_u32_e32 v2, vcc, v3, v2, vcc
	s_ashr_i32 s21, s20, 31
	v_cndmask_b32_e64 v3, 0, 1, s[0:1]
	s_mul_i32 s38, s3, s16
	s_mov_b64 s[18:19], 0
	s_lshl_b64 s[26:27], s[20:21], 3
	v_mov_b32_e32 v4, 0
	v_cmp_ne_u32_e64 s[0:1], 1, v3
	v_mov_b32_e32 v8, 0
	v_mov_b32_e32 v9, 0
                                        ; implicit-def: $sgpr22_sgpr23
                                        ; implicit-def: $sgpr14_sgpr15
	s_branch .LBB7_8
.LBB7_7:                                ;   in Loop: Header=BB7_8 Depth=1
	s_or_b64 exec, exec, s[36:37]
	s_xor_b64 s[30:31], s[30:31], -1
	s_xor_b64 s[2:3], s[2:3], -1
	s_and_b64 s[28:29], exec, s[28:29]
	s_or_b64 s[18:19], s[28:29], s[18:19]
	s_andn2_b64 s[14:15], s[14:15], exec
	s_and_b64 s[28:29], s[30:31], exec
	s_andn2_b64 s[22:23], s[22:23], exec
	s_and_b64 s[2:3], s[2:3], exec
	s_or_b64 s[14:15], s[14:15], s[28:29]
	s_or_b64 s[22:23], s[22:23], s[2:3]
	s_andn2_b64 exec, exec, s[18:19]
	s_cbranch_execz .LBB7_19
.LBB7_8:                                ; =>This Inner Loop Header: Depth=1
	global_load_dwordx2 v[5:6], v[1:2], off
	s_mov_b64 s[34:35], -1
                                        ; implicit-def: $sgpr2_sgpr3
                                        ; implicit-def: $sgpr30_sgpr31
	s_waitcnt vmcnt(0)
	v_ashrrev_i32_e32 v6, 31, v5
	s_waitcnt lgkmcnt(0)
	v_cmp_ne_u64_e32 vcc, s[4:5], v[5:6]
	s_and_saveexec_b64 s[28:29], vcc
	s_cbranch_execz .LBB7_17
; %bb.9:                                ;   in Loop: Header=BB7_8 Depth=1
	v_cmp_lt_i32_e32 vcc, -1, v5
	v_cmp_gt_i32_e64 s[2:3], s16, v5
	s_and_b64 s[40:41], vcc, s[2:3]
	s_mov_b64 s[2:3], -1
	s_mov_b64 s[36:37], 0
	s_mov_b64 s[30:31], 0
	s_and_saveexec_b64 s[34:35], s[40:41]
	s_cbranch_execz .LBB7_16
; %bb.10:                               ;   in Loop: Header=BB7_8 Depth=1
	s_and_b64 vcc, exec, s[0:1]
	s_cbranch_vccnz .LBB7_12
; %bb.11:                               ;   in Loop: Header=BB7_8 Depth=1
	v_lshlrev_b64 v[10:11], 2, v[5:6]
	v_mov_b32_e32 v3, s25
	v_add_co_u32_e32 v10, vcc, s24, v10
	v_addc_co_u32_e32 v11, vcc, v3, v11, vcc
	global_load_dword v6, v[10:11], off
	s_branch .LBB7_13
.LBB7_12:                               ;   in Loop: Header=BB7_8 Depth=1
	v_mov_b32_e32 v6, 1.0
.LBB7_13:                               ;   in Loop: Header=BB7_8 Depth=1
	v_mul_lo_u32 v3, s17, v5
	v_add3_u32 v3, s38, v7, v3
	v_cmp_lt_i32_e32 vcc, -1, v3
	s_and_saveexec_b64 s[2:3], vcc
	s_cbranch_execz .LBB7_15
; %bb.14:                               ;   in Loop: Header=BB7_8 Depth=1
	v_lshlrev_b64 v[10:11], 2, v[3:4]
	v_mov_b32_e32 v3, s13
	v_add_co_u32_e32 v10, vcc, s12, v10
	v_addc_co_u32_e32 v11, vcc, v3, v11, vcc
	global_load_dword v3, v[10:11], off
	s_mov_b64 s[36:37], exec
	s_waitcnt vmcnt(1)
	v_add_f32_e32 v9, v9, v6
	s_waitcnt vmcnt(0)
	v_fma_f32 v8, -v6, v3, v8
.LBB7_15:                               ;   in Loop: Header=BB7_8 Depth=1
	s_or_b64 exec, exec, s[2:3]
	s_mov_b64 s[30:31], exec
	s_xor_b64 s[2:3], exec, -1
	s_and_b64 s[36:37], s[36:37], exec
.LBB7_16:                               ;   in Loop: Header=BB7_8 Depth=1
	s_or_b64 exec, exec, s[34:35]
	s_orn2_b64 s[34:35], s[36:37], exec
.LBB7_17:                               ;   in Loop: Header=BB7_8 Depth=1
	s_or_b64 exec, exec, s[28:29]
	s_mov_b64 s[28:29], -1
	s_and_saveexec_b64 s[36:37], s[34:35]
	s_cbranch_execz .LBB7_7
; %bb.18:                               ;   in Loop: Header=BB7_8 Depth=1
	v_mov_b32_e32 v3, s27
	v_add_co_u32_e32 v1, vcc, s26, v1
	v_add_u32_e32 v7, s20, v7
	v_addc_co_u32_e32 v2, vcc, v2, v3, vcc
	v_cmp_le_i32_e32 vcc, s17, v7
	s_andn2_b64 s[30:31], s[30:31], exec
	s_andn2_b64 s[2:3], s[2:3], exec
	s_orn2_b64 s[28:29], vcc, exec
	s_branch .LBB7_7
.LBB7_19:
	s_or_b64 exec, exec, s[18:19]
	s_mov_b64 s[0:1], 0
	s_mov_b64 s[4:5], -1
	v_mov_b32_e32 v1, 0
	s_mov_b64 s[2:3], 0
	v_mov_b32_e32 v3, 0
	s_and_saveexec_b64 s[12:13], s[22:23]
	s_xor_b64 s[12:13], exec, s[12:13]
; %bb.20:
	s_mov_b64 s[2:3], exec
	s_xor_b64 s[4:5], exec, -1
	s_and_b64 s[0:1], s[14:15], exec
	v_mov_b32_e32 v1, v8
	v_mov_b32_e32 v3, v9
; %bb.21:
	s_or_b64 exec, exec, s[12:13]
	s_and_b64 s[20:21], s[4:5], exec
	s_and_b64 s[22:23], s[2:3], exec
	s_orn2_b64 s[0:1], s[0:1], exec
	s_or_b64 exec, exec, s[6:7]
	s_and_saveexec_b64 s[2:3], s[0:1]
	s_xor_b64 s[4:5], exec, s[2:3]
	s_cbranch_execz .LBB7_2
.LBB7_22:
	v_mbcnt_lo_u32_b32 v2, -1, 0
	v_mbcnt_hi_u32_b32 v7, -1, v2
	v_mov_b32_e32 v2, 0x80
	v_lshl_or_b32 v2, v7, 2, v2
	ds_bpermute_b32 v4, v2, v3
	v_and_b32_e32 v8, 63, v7
	v_cmp_gt_u32_e32 vcc, 48, v8
	v_cndmask_b32_e64 v5, 0, 16, vcc
	v_cmp_gt_u32_e32 vcc, 56, v8
	s_waitcnt vmcnt(0) lgkmcnt(0)
	v_add_f32_e32 v6, v3, v4
	v_add_lshl_u32 v3, v5, v7, 2
	ds_bpermute_b32 v5, v3, v6
	v_cndmask_b32_e64 v4, 0, 8, vcc
	v_add_lshl_u32 v4, v4, v7, 2
	v_cmp_gt_u32_e32 vcc, 60, v8
	v_and_b32_e32 v10, 63, v0
	s_waitcnt lgkmcnt(0)
	v_add_f32_e32 v6, v6, v5
	ds_bpermute_b32 v9, v4, v6
	v_cndmask_b32_e64 v5, 0, 4, vcc
	v_add_lshl_u32 v5, v5, v7, 2
	v_cmp_gt_u32_e32 vcc, 62, v8
	s_waitcnt lgkmcnt(0)
	v_add_f32_e32 v9, v6, v9
	ds_bpermute_b32 v11, v5, v9
	v_cndmask_b32_e64 v6, 0, 2, vcc
	v_add_lshl_u32 v6, v6, v7, 2
	v_cmp_ne_u32_e32 vcc, 63, v8
	v_addc_co_u32_e32 v7, vcc, 0, v7, vcc
	s_waitcnt lgkmcnt(0)
	v_add_f32_e32 v9, v9, v11
	ds_bpermute_b32 v11, v6, v9
	v_lshlrev_b32_e32 v7, 2, v7
	v_cmp_eq_u32_e32 vcc, 0, v10
	s_waitcnt lgkmcnt(0)
	s_barrier
	v_add_f32_e32 v8, v9, v11
	ds_bpermute_b32 v11, v7, v8
	v_lshrrev_b32_e32 v9, 4, v0
	s_and_saveexec_b64 s[0:1], vcc
	s_cbranch_execz .LBB7_24
; %bb.23:
	s_waitcnt lgkmcnt(0)
	v_add_f32_e32 v8, v8, v11
	ds_write_b32 v9, v8 offset:4096
.LBB7_24:
	s_or_b64 exec, exec, s[0:1]
	s_lshr_b32 s0, s33, 6
	v_cmp_gt_u32_e64 s[0:1], s0, v0
	v_mov_b32_e32 v8, 0
	v_lshlrev_b32_e32 v10, 2, v10
	s_waitcnt lgkmcnt(0)
	s_barrier
	s_and_saveexec_b64 s[2:3], s[0:1]
; %bb.25:
	ds_read_b32 v8, v10 offset:4096
; %bb.26:
	s_or_b64 exec, exec, s[2:3]
	v_cmp_gt_u32_e64 s[2:3], 64, v0
	s_and_saveexec_b64 s[6:7], s[2:3]
	s_cbranch_execz .LBB7_28
; %bb.27:
	s_waitcnt lgkmcnt(0)
	ds_bpermute_b32 v11, v2, v8
	s_waitcnt lgkmcnt(0)
	v_add_f32_e32 v8, v8, v11
	ds_bpermute_b32 v11, v3, v8
	s_waitcnt lgkmcnt(0)
	v_add_f32_e32 v8, v8, v11
	;; [unrolled: 3-line block ×6, first 2 shown]
.LBB7_28:
	s_or_b64 exec, exec, s[6:7]
	ds_bpermute_b32 v11, v2, v1
	s_waitcnt lgkmcnt(0)
	s_barrier
	v_add_f32_e32 v1, v1, v11
	ds_bpermute_b32 v11, v3, v1
	s_waitcnt lgkmcnt(0)
	v_add_f32_e32 v1, v1, v11
	ds_bpermute_b32 v11, v4, v1
	s_waitcnt lgkmcnt(0)
	;; [unrolled: 3-line block ×4, first 2 shown]
	v_add_f32_e32 v1, v1, v11
	ds_bpermute_b32 v11, v7, v1
	s_and_saveexec_b64 s[6:7], vcc
	s_cbranch_execz .LBB7_30
; %bb.29:
	s_waitcnt lgkmcnt(0)
	v_add_f32_e32 v1, v1, v11
	ds_write_b32 v9, v1
.LBB7_30:
	s_or_b64 exec, exec, s[6:7]
	v_mov_b32_e32 v9, 0
	s_waitcnt lgkmcnt(0)
	s_barrier
	s_and_saveexec_b64 s[6:7], s[0:1]
	s_cbranch_execnz .LBB7_33
; %bb.31:
	s_or_b64 exec, exec, s[6:7]
	s_and_saveexec_b64 s[0:1], s[2:3]
	s_cbranch_execnz .LBB7_34
.LBB7_32:
	s_or_b64 exec, exec, s[0:1]
	v_cmp_eq_u32_e32 vcc, 0, v0
	s_and_saveexec_b64 s[0:1], vcc
	s_cbranch_execnz .LBB7_35
	s_branch .LBB7_47
.LBB7_33:
	ds_read_b32 v9, v10
	s_or_b64 exec, exec, s[6:7]
	s_and_saveexec_b64 s[0:1], s[2:3]
	s_cbranch_execz .LBB7_32
.LBB7_34:
	s_waitcnt lgkmcnt(0)
	ds_bpermute_b32 v1, v2, v9
	s_waitcnt lgkmcnt(0)
	v_add_f32_e32 v1, v9, v1
	ds_bpermute_b32 v2, v3, v1
	s_waitcnt lgkmcnt(0)
	v_add_f32_e32 v1, v1, v2
	;; [unrolled: 3-line block ×6, first 2 shown]
	s_or_b64 exec, exec, s[0:1]
	v_cmp_eq_u32_e32 vcc, 0, v0
	s_and_saveexec_b64 s[0:1], vcc
	s_cbranch_execz .LBB7_47
.LBB7_35:
	s_mov_b64 s[2:3], exec
	v_bfrev_b32_e32 v2, 1
.LBB7_36:                               ; =>This Inner Loop Header: Depth=1
	s_ff1_i32_b64 s6, s[2:3]
	v_readlane_b32 s12, v8, s6
	s_lshl_b64 s[6:7], 1, s6
	s_andn2_b64 s[2:3], s[2:3], s[6:7]
	s_cmp_lg_u64 s[2:3], 0
	v_add_f32_e32 v2, s12, v2
	s_cbranch_scc1 .LBB7_36
; %bb.37:
	v_mbcnt_lo_u32_b32 v0, exec_lo, 0
	v_mbcnt_hi_u32_b32 v0, exec_hi, v0
	v_cmp_eq_u32_e32 vcc, 0, v0
	s_and_saveexec_b64 s[2:3], vcc
	s_xor_b64 s[2:3], exec, s[2:3]
	s_cbranch_execz .LBB7_41
; %bb.38:
	s_load_dword s12, s[10:11], 0x0
	s_mov_b64 s[6:7], 0
	v_mov_b32_e32 v3, 0
	s_waitcnt lgkmcnt(0)
	v_mov_b32_e32 v1, s12
.LBB7_39:                               ; =>This Inner Loop Header: Depth=1
	v_add_f32_e32 v0, v1, v2
	global_atomic_cmpswap v0, v3, v[0:1], s[10:11] glc
	s_waitcnt vmcnt(0)
	v_cmp_eq_u32_e32 vcc, v0, v1
	s_or_b64 s[6:7], vcc, s[6:7]
	v_mov_b32_e32 v1, v0
	s_andn2_b64 exec, exec, s[6:7]
	s_cbranch_execnz .LBB7_39
; %bb.40:
	s_or_b64 exec, exec, s[6:7]
.LBB7_41:
	s_or_b64 exec, exec, s[2:3]
	s_mov_b64 s[2:3], exec
	v_bfrev_b32_e32 v2, 1
.LBB7_42:                               ; =>This Inner Loop Header: Depth=1
	s_ff1_i32_b64 s6, s[2:3]
	s_waitcnt lgkmcnt(0)
	v_readlane_b32 s10, v9, s6
	s_lshl_b64 s[6:7], 1, s6
	s_andn2_b64 s[2:3], s[2:3], s[6:7]
	s_cmp_lg_u64 s[2:3], 0
	v_add_f32_e32 v2, s10, v2
	s_cbranch_scc1 .LBB7_42
; %bb.43:
	v_mbcnt_lo_u32_b32 v0, exec_lo, 0
	v_mbcnt_hi_u32_b32 v0, exec_hi, v0
	v_cmp_eq_u32_e32 vcc, 0, v0
	s_and_saveexec_b64 s[2:3], vcc
	s_xor_b64 s[2:3], exec, s[2:3]
	s_cbranch_execz .LBB7_47
; %bb.44:
	v_mov_b32_e32 v3, 0
	global_load_dword v1, v3, s[8:9]
	s_mov_b64 s[2:3], 0
.LBB7_45:                               ; =>This Inner Loop Header: Depth=1
	s_waitcnt vmcnt(0)
	v_add_f32_e32 v0, v1, v2
	global_atomic_cmpswap v0, v3, v[0:1], s[8:9] glc
	s_waitcnt vmcnt(0)
	v_cmp_eq_u32_e32 vcc, v0, v1
	s_or_b64 s[2:3], vcc, s[2:3]
	v_mov_b32_e32 v1, v0
	s_andn2_b64 exec, exec, s[2:3]
	s_cbranch_execnz .LBB7_45
; %bb.46:
	s_or_b64 exec, exec, s[2:3]
.LBB7_47:
	s_or_b64 exec, exec, s[0:1]
	s_andn2_b64 s[22:23], s[22:23], exec
	s_or_b64 exec, exec, s[4:5]
	s_mov_b64 s[0:1], 0
	s_and_saveexec_b64 s[2:3], s[22:23]
	s_cbranch_execz .LBB7_3
.LBB7_48:
	s_mov_b64 s[0:1], exec
	s_trap 2
	s_or_b64 exec, exec, s[2:3]
	s_and_saveexec_b64 s[2:3], s[20:21]
	s_cbranch_execz .LBB7_4
.LBB7_49:
	s_or_b64 s[0:1], s[0:1], exec
	s_trap 2
	s_or_b64 exec, exec, s[2:3]
	s_and_saveexec_b64 s[2:3], s[0:1]
	s_cbranch_execz .LBB7_5
.LBB7_50:
	; divergent unreachable
	s_endpgm
	.section	.rodata,"a",@progbits
	.p2align	6, 0x0
	.amdhsa_kernel _ZN2at6native12_GLOBAL__N_125nll_loss2d_forward_kernelIffiEEvPT_S4_PKS3_PKlS6_iiil
		.amdhsa_group_segment_fixed_size 8192
		.amdhsa_private_segment_fixed_size 0
		.amdhsa_kernarg_size 320
		.amdhsa_user_sgpr_count 6
		.amdhsa_user_sgpr_private_segment_buffer 1
		.amdhsa_user_sgpr_dispatch_ptr 0
		.amdhsa_user_sgpr_queue_ptr 0
		.amdhsa_user_sgpr_kernarg_segment_ptr 1
		.amdhsa_user_sgpr_dispatch_id 0
		.amdhsa_user_sgpr_flat_scratch_init 0
		.amdhsa_user_sgpr_private_segment_size 0
		.amdhsa_uses_dynamic_stack 0
		.amdhsa_system_sgpr_private_segment_wavefront_offset 0
		.amdhsa_system_sgpr_workgroup_id_x 1
		.amdhsa_system_sgpr_workgroup_id_y 0
		.amdhsa_system_sgpr_workgroup_id_z 0
		.amdhsa_system_sgpr_workgroup_info 0
		.amdhsa_system_vgpr_workitem_id 0
		.amdhsa_next_free_vgpr 29
		.amdhsa_next_free_sgpr 61
		.amdhsa_reserve_vcc 1
		.amdhsa_reserve_flat_scratch 0
		.amdhsa_float_round_mode_32 0
		.amdhsa_float_round_mode_16_64 0
		.amdhsa_float_denorm_mode_32 3
		.amdhsa_float_denorm_mode_16_64 3
		.amdhsa_dx10_clamp 1
		.amdhsa_ieee_mode 1
		.amdhsa_fp16_overflow 0
		.amdhsa_exception_fp_ieee_invalid_op 0
		.amdhsa_exception_fp_denorm_src 0
		.amdhsa_exception_fp_ieee_div_zero 0
		.amdhsa_exception_fp_ieee_overflow 0
		.amdhsa_exception_fp_ieee_underflow 0
		.amdhsa_exception_fp_ieee_inexact 0
		.amdhsa_exception_int_div_zero 0
	.end_amdhsa_kernel
	.section	.text._ZN2at6native12_GLOBAL__N_125nll_loss2d_forward_kernelIffiEEvPT_S4_PKS3_PKlS6_iiil,"axG",@progbits,_ZN2at6native12_GLOBAL__N_125nll_loss2d_forward_kernelIffiEEvPT_S4_PKS3_PKlS6_iiil,comdat
.Lfunc_end7:
	.size	_ZN2at6native12_GLOBAL__N_125nll_loss2d_forward_kernelIffiEEvPT_S4_PKS3_PKlS6_iiil, .Lfunc_end7-_ZN2at6native12_GLOBAL__N_125nll_loss2d_forward_kernelIffiEEvPT_S4_PKS3_PKlS6_iiil
                                        ; -- End function
	.set _ZN2at6native12_GLOBAL__N_125nll_loss2d_forward_kernelIffiEEvPT_S4_PKS3_PKlS6_iiil.num_vgpr, 12
	.set _ZN2at6native12_GLOBAL__N_125nll_loss2d_forward_kernelIffiEEvPT_S4_PKS3_PKlS6_iiil.num_agpr, 0
	.set _ZN2at6native12_GLOBAL__N_125nll_loss2d_forward_kernelIffiEEvPT_S4_PKS3_PKlS6_iiil.numbered_sgpr, 42
	.set _ZN2at6native12_GLOBAL__N_125nll_loss2d_forward_kernelIffiEEvPT_S4_PKS3_PKlS6_iiil.num_named_barrier, 0
	.set _ZN2at6native12_GLOBAL__N_125nll_loss2d_forward_kernelIffiEEvPT_S4_PKS3_PKlS6_iiil.private_seg_size, 0
	.set _ZN2at6native12_GLOBAL__N_125nll_loss2d_forward_kernelIffiEEvPT_S4_PKS3_PKlS6_iiil.uses_vcc, 1
	.set _ZN2at6native12_GLOBAL__N_125nll_loss2d_forward_kernelIffiEEvPT_S4_PKS3_PKlS6_iiil.uses_flat_scratch, 0
	.set _ZN2at6native12_GLOBAL__N_125nll_loss2d_forward_kernelIffiEEvPT_S4_PKS3_PKlS6_iiil.has_dyn_sized_stack, 0
	.set _ZN2at6native12_GLOBAL__N_125nll_loss2d_forward_kernelIffiEEvPT_S4_PKS3_PKlS6_iiil.has_recursion, 0
	.set _ZN2at6native12_GLOBAL__N_125nll_loss2d_forward_kernelIffiEEvPT_S4_PKS3_PKlS6_iiil.has_indirect_call, 0
	.section	.AMDGPU.csdata,"",@progbits
; Kernel info:
; codeLenInByte = 1824
; TotalNumSgprs: 46
; NumVgprs: 12
; ScratchSize: 0
; MemoryBound: 0
; FloatMode: 240
; IeeeMode: 1
; LDSByteSize: 8192 bytes/workgroup (compile time only)
; SGPRBlocks: 8
; VGPRBlocks: 7
; NumSGPRsForWavesPerEU: 65
; NumVGPRsForWavesPerEU: 29
; Occupancy: 8
; WaveLimiterHint : 1
; COMPUTE_PGM_RSRC2:SCRATCH_EN: 0
; COMPUTE_PGM_RSRC2:USER_SGPR: 6
; COMPUTE_PGM_RSRC2:TRAP_HANDLER: 0
; COMPUTE_PGM_RSRC2:TGID_X_EN: 1
; COMPUTE_PGM_RSRC2:TGID_Y_EN: 0
; COMPUTE_PGM_RSRC2:TGID_Z_EN: 0
; COMPUTE_PGM_RSRC2:TIDIG_COMP_CNT: 0
	.section	.text._ZN2at6native12_GLOBAL__N_138nll_loss2d_forward_size_average_kernelIfEEvPT_PKS3_,"axG",@progbits,_ZN2at6native12_GLOBAL__N_138nll_loss2d_forward_size_average_kernelIfEEvPT_PKS3_,comdat
	.globl	_ZN2at6native12_GLOBAL__N_138nll_loss2d_forward_size_average_kernelIfEEvPT_PKS3_ ; -- Begin function _ZN2at6native12_GLOBAL__N_138nll_loss2d_forward_size_average_kernelIfEEvPT_PKS3_
	.p2align	8
	.type	_ZN2at6native12_GLOBAL__N_138nll_loss2d_forward_size_average_kernelIfEEvPT_PKS3_,@function
_ZN2at6native12_GLOBAL__N_138nll_loss2d_forward_size_average_kernelIfEEvPT_PKS3_: ; @_ZN2at6native12_GLOBAL__N_138nll_loss2d_forward_size_average_kernelIfEEvPT_PKS3_
; %bb.0:
	s_load_dwordx4 s[0:3], s[4:5], 0x0
	s_waitcnt lgkmcnt(0)
	s_load_dword s4, s[0:1], 0x0
	s_load_dword s5, s[2:3], 0x0
	s_waitcnt lgkmcnt(0)
	v_mov_b32_e32 v0, s4
	v_div_scale_f32 v1, s[2:3], s5, s5, v0
	v_mov_b32_e32 v2, s5
	v_div_scale_f32 v2, vcc, s4, v2, s4
	v_rcp_f32_e32 v3, v1
	v_fma_f32 v4, -v1, v3, 1.0
	v_fmac_f32_e32 v3, v4, v3
	v_mul_f32_e32 v4, v2, v3
	v_fma_f32 v5, -v1, v4, v2
	v_fmac_f32_e32 v4, v5, v3
	v_fma_f32 v1, -v1, v4, v2
	v_div_fmas_f32 v1, v1, v3, v4
	v_mov_b32_e32 v2, 0
	v_div_fixup_f32 v0, v1, s5, v0
	global_store_dword v2, v0, s[0:1]
	s_endpgm
	.section	.rodata,"a",@progbits
	.p2align	6, 0x0
	.amdhsa_kernel _ZN2at6native12_GLOBAL__N_138nll_loss2d_forward_size_average_kernelIfEEvPT_PKS3_
		.amdhsa_group_segment_fixed_size 0
		.amdhsa_private_segment_fixed_size 0
		.amdhsa_kernarg_size 16
		.amdhsa_user_sgpr_count 6
		.amdhsa_user_sgpr_private_segment_buffer 1
		.amdhsa_user_sgpr_dispatch_ptr 0
		.amdhsa_user_sgpr_queue_ptr 0
		.amdhsa_user_sgpr_kernarg_segment_ptr 1
		.amdhsa_user_sgpr_dispatch_id 0
		.amdhsa_user_sgpr_flat_scratch_init 0
		.amdhsa_user_sgpr_private_segment_size 0
		.amdhsa_uses_dynamic_stack 0
		.amdhsa_system_sgpr_private_segment_wavefront_offset 0
		.amdhsa_system_sgpr_workgroup_id_x 1
		.amdhsa_system_sgpr_workgroup_id_y 0
		.amdhsa_system_sgpr_workgroup_id_z 0
		.amdhsa_system_sgpr_workgroup_info 0
		.amdhsa_system_vgpr_workitem_id 0
		.amdhsa_next_free_vgpr 6
		.amdhsa_next_free_sgpr 6
		.amdhsa_reserve_vcc 1
		.amdhsa_reserve_flat_scratch 0
		.amdhsa_float_round_mode_32 0
		.amdhsa_float_round_mode_16_64 0
		.amdhsa_float_denorm_mode_32 3
		.amdhsa_float_denorm_mode_16_64 3
		.amdhsa_dx10_clamp 1
		.amdhsa_ieee_mode 1
		.amdhsa_fp16_overflow 0
		.amdhsa_exception_fp_ieee_invalid_op 0
		.amdhsa_exception_fp_denorm_src 0
		.amdhsa_exception_fp_ieee_div_zero 0
		.amdhsa_exception_fp_ieee_overflow 0
		.amdhsa_exception_fp_ieee_underflow 0
		.amdhsa_exception_fp_ieee_inexact 0
		.amdhsa_exception_int_div_zero 0
	.end_amdhsa_kernel
	.section	.text._ZN2at6native12_GLOBAL__N_138nll_loss2d_forward_size_average_kernelIfEEvPT_PKS3_,"axG",@progbits,_ZN2at6native12_GLOBAL__N_138nll_loss2d_forward_size_average_kernelIfEEvPT_PKS3_,comdat
.Lfunc_end8:
	.size	_ZN2at6native12_GLOBAL__N_138nll_loss2d_forward_size_average_kernelIfEEvPT_PKS3_, .Lfunc_end8-_ZN2at6native12_GLOBAL__N_138nll_loss2d_forward_size_average_kernelIfEEvPT_PKS3_
                                        ; -- End function
	.set _ZN2at6native12_GLOBAL__N_138nll_loss2d_forward_size_average_kernelIfEEvPT_PKS3_.num_vgpr, 6
	.set _ZN2at6native12_GLOBAL__N_138nll_loss2d_forward_size_average_kernelIfEEvPT_PKS3_.num_agpr, 0
	.set _ZN2at6native12_GLOBAL__N_138nll_loss2d_forward_size_average_kernelIfEEvPT_PKS3_.numbered_sgpr, 6
	.set _ZN2at6native12_GLOBAL__N_138nll_loss2d_forward_size_average_kernelIfEEvPT_PKS3_.num_named_barrier, 0
	.set _ZN2at6native12_GLOBAL__N_138nll_loss2d_forward_size_average_kernelIfEEvPT_PKS3_.private_seg_size, 0
	.set _ZN2at6native12_GLOBAL__N_138nll_loss2d_forward_size_average_kernelIfEEvPT_PKS3_.uses_vcc, 1
	.set _ZN2at6native12_GLOBAL__N_138nll_loss2d_forward_size_average_kernelIfEEvPT_PKS3_.uses_flat_scratch, 0
	.set _ZN2at6native12_GLOBAL__N_138nll_loss2d_forward_size_average_kernelIfEEvPT_PKS3_.has_dyn_sized_stack, 0
	.set _ZN2at6native12_GLOBAL__N_138nll_loss2d_forward_size_average_kernelIfEEvPT_PKS3_.has_recursion, 0
	.set _ZN2at6native12_GLOBAL__N_138nll_loss2d_forward_size_average_kernelIfEEvPT_PKS3_.has_indirect_call, 0
	.section	.AMDGPU.csdata,"",@progbits
; Kernel info:
; codeLenInByte = 128
; TotalNumSgprs: 10
; NumVgprs: 6
; ScratchSize: 0
; MemoryBound: 0
; FloatMode: 240
; IeeeMode: 1
; LDSByteSize: 0 bytes/workgroup (compile time only)
; SGPRBlocks: 1
; VGPRBlocks: 1
; NumSGPRsForWavesPerEU: 10
; NumVGPRsForWavesPerEU: 6
; Occupancy: 10
; WaveLimiterHint : 0
; COMPUTE_PGM_RSRC2:SCRATCH_EN: 0
; COMPUTE_PGM_RSRC2:USER_SGPR: 6
; COMPUTE_PGM_RSRC2:TRAP_HANDLER: 0
; COMPUTE_PGM_RSRC2:TGID_X_EN: 1
; COMPUTE_PGM_RSRC2:TGID_Y_EN: 0
; COMPUTE_PGM_RSRC2:TGID_Z_EN: 0
; COMPUTE_PGM_RSRC2:TIDIG_COMP_CNT: 0
	.section	.text._ZN2at6native12_GLOBAL__N_125nll_loss2d_forward_kernelIfflEEvPT_S4_PKS3_PKlS6_iiil,"axG",@progbits,_ZN2at6native12_GLOBAL__N_125nll_loss2d_forward_kernelIfflEEvPT_S4_PKS3_PKlS6_iiil,comdat
	.globl	_ZN2at6native12_GLOBAL__N_125nll_loss2d_forward_kernelIfflEEvPT_S4_PKS3_PKlS6_iiil ; -- Begin function _ZN2at6native12_GLOBAL__N_125nll_loss2d_forward_kernelIfflEEvPT_S4_PKS3_PKlS6_iiil
	.p2align	8
	.type	_ZN2at6native12_GLOBAL__N_125nll_loss2d_forward_kernelIfflEEvPT_S4_PKS3_PKlS6_iiil,@function
_ZN2at6native12_GLOBAL__N_125nll_loss2d_forward_kernelIfflEEvPT_S4_PKS3_PKlS6_iiil: ; @_ZN2at6native12_GLOBAL__N_125nll_loss2d_forward_kernelIfflEEvPT_S4_PKS3_PKlS6_iiil
; %bb.0:
	s_load_dwordx4 s[16:19], s[4:5], 0x28
	s_load_dwordx2 s[24:25], s[4:5], 0x20
	s_load_dwordx8 s[8:15], s[4:5], 0x0
	s_load_dword s3, s[4:5], 0x4c
	s_mov_b64 s[0:1], -1
	s_mov_b64 s[22:23], 0
	s_waitcnt lgkmcnt(0)
	v_cvt_f32_u32_e32 v1, s18
	s_sub_i32 s2, 0, s18
	v_mov_b32_e32 v3, 0
	s_mov_b64 s[20:21], 0
	v_rcp_iflag_f32_e32 v1, v1
	v_mov_b32_e32 v4, 0
	v_mul_f32_e32 v1, 0x4f7ffffe, v1
	v_cvt_u32_f32_e32 v1, v1
	v_readfirstlane_b32 s7, v1
	s_mul_i32 s2, s2, s7
	s_mul_hi_u32 s2, s7, s2
	s_add_i32 s7, s7, s2
	s_mul_hi_u32 s2, s6, s7
	s_mul_i32 s7, s2, s18
	s_sub_i32 s7, s6, s7
	s_add_i32 s19, s2, 1
	s_sub_i32 s26, s7, s18
	s_cmp_ge_u32 s7, s18
	s_cselect_b32 s2, s19, s2
	s_cselect_b32 s7, s26, s7
	s_add_i32 s19, s2, 1
	s_cmp_ge_u32 s7, s18
	s_cselect_b32 s2, s19, s2
	s_and_b32 s33, s3, 0xffff
	s_mul_i32 s3, s2, s18
	s_sub_i32 s3, s6, s3
	s_mul_i32 s3, s3, s33
	v_add_u32_e32 v1, s3, v0
	v_cmp_gt_i32_e32 vcc, s17, v1
	s_and_saveexec_b64 s[6:7], vcc
	s_cbranch_execnz .LBB9_6
; %bb.1:
	s_or_b64 exec, exec, s[6:7]
	s_and_saveexec_b64 s[2:3], s[0:1]
	s_xor_b64 s[4:5], exec, s[2:3]
	s_cbranch_execnz .LBB9_22
.LBB9_2:
	s_or_b64 exec, exec, s[4:5]
	s_mov_b64 s[0:1], 0
	s_and_saveexec_b64 s[2:3], s[22:23]
	s_cbranch_execnz .LBB9_48
.LBB9_3:
	s_or_b64 exec, exec, s[2:3]
	s_and_saveexec_b64 s[2:3], s[20:21]
	s_cbranch_execnz .LBB9_49
.LBB9_4:
	s_or_b64 exec, exec, s[2:3]
	s_and_saveexec_b64 s[2:3], s[0:1]
	s_cbranch_execnz .LBB9_50
.LBB9_5:
	s_endpgm
.LBB9_6:
	s_ashr_i32 s38, s17, 31
	s_mul_hi_u32 s0, s2, s17
	s_mul_i32 s1, s2, s38
	s_mov_b32 s39, s17
	s_add_i32 s1, s0, s1
	s_mul_i32 s0, s2, s17
	s_ashr_i32 s17, s16, 31
	s_cmp_lg_u64 s[24:25], 0
	s_cselect_b64 s[2:3], -1, 0
	s_lshl_b64 s[22:23], s[0:1], 3
	v_ashrrev_i32_e32 v2, 31, v1
	v_lshlrev_b64 v[3:4], 3, v[1:2]
	s_add_u32 s14, s14, s22
	s_addc_u32 s15, s15, s23
	v_mov_b32_e32 v5, s15
	v_add_co_u32_e32 v3, vcc, s14, v3
	v_addc_co_u32_e32 v4, vcc, v5, v4, vcc
	v_mov_b32_e32 v5, s16
	s_load_dwordx2 s[4:5], s[4:5], 0x38
	v_mad_u64_u32 v[5:6], s[14:15], s0, v5, v[1:2]
	s_mul_i32 s20, s18, s33
	s_mul_i32 s0, s0, s17
	;; [unrolled: 1-line block ×3, first 2 shown]
	s_ashr_i32 s21, s20, 31
	s_add_i32 s0, s0, s1
	v_cndmask_b32_e64 v7, 0, 1, s[2:3]
	s_mov_b64 s[18:19], 0
	s_lshl_b64 s[22:23], s[20:21], 3
	v_add_u32_e32 v6, s0, v6
	v_mov_b32_e32 v2, 0
	v_cmp_ne_u32_e64 s[0:1], 1, v7
	v_mov_b32_e32 v11, 0
                                        ; implicit-def: $sgpr26_sgpr27
                                        ; implicit-def: $sgpr14_sgpr15
	s_branch .LBB9_8
.LBB9_7:                                ;   in Loop: Header=BB9_8 Depth=1
	s_or_b64 exec, exec, s[28:29]
	s_xor_b64 s[28:29], s[30:31], -1
	s_xor_b64 s[2:3], s[2:3], -1
	s_and_b64 s[30:31], exec, s[36:37]
	s_or_b64 s[18:19], s[30:31], s[18:19]
	s_andn2_b64 s[14:15], s[14:15], exec
	s_and_b64 s[28:29], s[28:29], exec
	s_andn2_b64 s[26:27], s[26:27], exec
	s_and_b64 s[2:3], s[2:3], exec
	s_or_b64 s[14:15], s[14:15], s[28:29]
	s_or_b64 s[26:27], s[26:27], s[2:3]
	s_andn2_b64 exec, exec, s[18:19]
	s_cbranch_execz .LBB9_19
.LBB9_8:                                ; =>This Inner Loop Header: Depth=1
	global_load_dwordx2 v[7:8], v[3:4], off
	s_mov_b64 s[34:35], -1
                                        ; implicit-def: $sgpr2_sgpr3
                                        ; implicit-def: $sgpr30_sgpr31
	s_waitcnt vmcnt(0) lgkmcnt(0)
	v_cmp_ne_u64_e32 vcc, s[4:5], v[7:8]
	s_and_saveexec_b64 s[28:29], vcc
	s_cbranch_execz .LBB9_17
; %bb.9:                                ;   in Loop: Header=BB9_8 Depth=1
	v_cmp_lt_i64_e32 vcc, -1, v[7:8]
	v_cmp_gt_i64_e64 s[2:3], s[16:17], v[7:8]
	s_mov_b64 s[36:37], 0
	s_and_b64 s[40:41], vcc, s[2:3]
	s_mov_b64 s[2:3], -1
	s_mov_b64 s[30:31], 0
	s_and_saveexec_b64 s[34:35], s[40:41]
	s_cbranch_execz .LBB9_16
; %bb.10:                               ;   in Loop: Header=BB9_8 Depth=1
	s_and_b64 vcc, exec, s[0:1]
	s_cbranch_vccnz .LBB9_12
; %bb.11:                               ;   in Loop: Header=BB9_8 Depth=1
	v_lshlrev_b64 v[9:10], 2, v[7:8]
	v_mov_b32_e32 v12, s25
	v_add_co_u32_e32 v9, vcc, s24, v9
	v_addc_co_u32_e32 v10, vcc, v12, v10, vcc
	global_load_dword v12, v[9:10], off
	s_branch .LBB9_13
.LBB9_12:                               ;   in Loop: Header=BB9_8 Depth=1
	v_mov_b32_e32 v12, 1.0
.LBB9_13:                               ;   in Loop: Header=BB9_8 Depth=1
	v_mad_u64_u32 v[9:10], s[2:3], v7, s39, v[5:6]
	v_mul_lo_u32 v7, v7, s38
	v_mul_lo_u32 v8, v8, s39
	v_add3_u32 v10, v8, v10, v7
	v_cmp_lt_i64_e32 vcc, -1, v[9:10]
	s_and_saveexec_b64 s[2:3], vcc
	s_cbranch_execz .LBB9_15
; %bb.14:                               ;   in Loop: Header=BB9_8 Depth=1
	v_lshlrev_b64 v[7:8], 2, v[9:10]
	v_mov_b32_e32 v9, s13
	v_add_co_u32_e32 v7, vcc, s12, v7
	v_addc_co_u32_e32 v8, vcc, v9, v8, vcc
	global_load_dword v7, v[7:8], off
	s_mov_b64 s[36:37], exec
	s_waitcnt vmcnt(1)
	v_add_f32_e32 v11, v11, v12
	s_waitcnt vmcnt(0)
	v_fma_f32 v2, -v12, v7, v2
.LBB9_15:                               ;   in Loop: Header=BB9_8 Depth=1
	s_or_b64 exec, exec, s[2:3]
	s_mov_b64 s[30:31], exec
	s_xor_b64 s[2:3], exec, -1
	s_and_b64 s[36:37], s[36:37], exec
.LBB9_16:                               ;   in Loop: Header=BB9_8 Depth=1
	s_or_b64 exec, exec, s[34:35]
	s_orn2_b64 s[34:35], s[36:37], exec
.LBB9_17:                               ;   in Loop: Header=BB9_8 Depth=1
	s_or_b64 exec, exec, s[28:29]
	s_mov_b64 s[36:37], -1
	s_and_saveexec_b64 s[28:29], s[34:35]
	s_cbranch_execz .LBB9_7
; %bb.18:                               ;   in Loop: Header=BB9_8 Depth=1
	v_mov_b32_e32 v7, s23
	v_add_co_u32_e32 v3, vcc, s22, v3
	v_addc_co_u32_e32 v4, vcc, v4, v7, vcc
	v_mov_b32_e32 v7, s21
	v_add_co_u32_e32 v5, vcc, s20, v5
	v_add_u32_e32 v1, s20, v1
	v_addc_co_u32_e32 v6, vcc, v6, v7, vcc
	v_cmp_le_i32_e32 vcc, s39, v1
	s_andn2_b64 s[30:31], s[30:31], exec
	s_andn2_b64 s[2:3], s[2:3], exec
	s_orn2_b64 s[36:37], vcc, exec
	s_branch .LBB9_7
.LBB9_19:
	s_or_b64 exec, exec, s[18:19]
	s_mov_b64 s[0:1], 0
	s_mov_b64 s[4:5], -1
	v_mov_b32_e32 v3, 0
	s_mov_b64 s[2:3], 0
	v_mov_b32_e32 v4, 0
	s_and_saveexec_b64 s[12:13], s[26:27]
	s_xor_b64 s[12:13], exec, s[12:13]
; %bb.20:
	s_mov_b64 s[2:3], exec
	s_xor_b64 s[4:5], exec, -1
	s_and_b64 s[0:1], s[14:15], exec
	v_mov_b32_e32 v3, v2
	v_mov_b32_e32 v4, v11
; %bb.21:
	s_or_b64 exec, exec, s[12:13]
	s_and_b64 s[20:21], s[4:5], exec
	s_and_b64 s[22:23], s[2:3], exec
	s_orn2_b64 s[0:1], s[0:1], exec
	s_or_b64 exec, exec, s[6:7]
	s_and_saveexec_b64 s[2:3], s[0:1]
	s_xor_b64 s[4:5], exec, s[2:3]
	s_cbranch_execz .LBB9_2
.LBB9_22:
	v_mbcnt_lo_u32_b32 v1, -1, 0
	v_mbcnt_hi_u32_b32 v7, -1, v1
	v_mov_b32_e32 v1, 0x80
	v_lshl_or_b32 v1, v7, 2, v1
	ds_bpermute_b32 v2, v1, v4
	v_and_b32_e32 v8, 63, v7
	v_cmp_gt_u32_e32 vcc, 48, v8
	v_cndmask_b32_e64 v5, 0, 16, vcc
	v_cmp_gt_u32_e32 vcc, 56, v8
	s_waitcnt lgkmcnt(0)
	v_add_f32_e32 v6, v4, v2
	v_add_lshl_u32 v2, v5, v7, 2
	ds_bpermute_b32 v5, v2, v6
	v_cndmask_b32_e64 v4, 0, 8, vcc
	v_add_lshl_u32 v4, v4, v7, 2
	v_cmp_gt_u32_e32 vcc, 60, v8
	v_and_b32_e32 v10, 63, v0
	s_waitcnt lgkmcnt(0)
	v_add_f32_e32 v6, v6, v5
	ds_bpermute_b32 v9, v4, v6
	v_cndmask_b32_e64 v5, 0, 4, vcc
	v_add_lshl_u32 v5, v5, v7, 2
	v_cmp_gt_u32_e32 vcc, 62, v8
	s_waitcnt lgkmcnt(0)
	v_add_f32_e32 v9, v6, v9
	ds_bpermute_b32 v11, v5, v9
	v_cndmask_b32_e64 v6, 0, 2, vcc
	v_add_lshl_u32 v6, v6, v7, 2
	v_cmp_ne_u32_e32 vcc, 63, v8
	v_addc_co_u32_e32 v7, vcc, 0, v7, vcc
	s_waitcnt lgkmcnt(0)
	v_add_f32_e32 v9, v9, v11
	ds_bpermute_b32 v11, v6, v9
	v_lshlrev_b32_e32 v7, 2, v7
	v_cmp_eq_u32_e32 vcc, 0, v10
	s_waitcnt vmcnt(0) lgkmcnt(0)
	s_barrier
	v_add_f32_e32 v8, v9, v11
	ds_bpermute_b32 v11, v7, v8
	v_lshrrev_b32_e32 v9, 4, v0
	s_and_saveexec_b64 s[0:1], vcc
	s_cbranch_execz .LBB9_24
; %bb.23:
	s_waitcnt lgkmcnt(0)
	v_add_f32_e32 v8, v8, v11
	ds_write_b32 v9, v8 offset:4096
.LBB9_24:
	s_or_b64 exec, exec, s[0:1]
	s_lshr_b32 s0, s33, 6
	v_cmp_gt_u32_e64 s[0:1], s0, v0
	v_mov_b32_e32 v8, 0
	v_lshlrev_b32_e32 v10, 2, v10
	s_waitcnt lgkmcnt(0)
	s_barrier
	s_and_saveexec_b64 s[2:3], s[0:1]
; %bb.25:
	ds_read_b32 v8, v10 offset:4096
; %bb.26:
	s_or_b64 exec, exec, s[2:3]
	v_cmp_gt_u32_e64 s[2:3], 64, v0
	s_and_saveexec_b64 s[6:7], s[2:3]
	s_cbranch_execz .LBB9_28
; %bb.27:
	s_waitcnt lgkmcnt(0)
	ds_bpermute_b32 v11, v1, v8
	s_waitcnt lgkmcnt(0)
	v_add_f32_e32 v8, v8, v11
	ds_bpermute_b32 v11, v2, v8
	s_waitcnt lgkmcnt(0)
	v_add_f32_e32 v8, v8, v11
	;; [unrolled: 3-line block ×6, first 2 shown]
.LBB9_28:
	s_or_b64 exec, exec, s[6:7]
	ds_bpermute_b32 v11, v1, v3
	s_waitcnt lgkmcnt(0)
	s_barrier
	v_add_f32_e32 v3, v3, v11
	ds_bpermute_b32 v11, v2, v3
	s_waitcnt lgkmcnt(0)
	v_add_f32_e32 v3, v3, v11
	ds_bpermute_b32 v11, v4, v3
	s_waitcnt lgkmcnt(0)
	v_add_f32_e32 v3, v3, v11
	ds_bpermute_b32 v11, v5, v3
	s_waitcnt lgkmcnt(0)
	v_add_f32_e32 v3, v3, v11
	ds_bpermute_b32 v11, v6, v3
	s_waitcnt lgkmcnt(0)
	v_add_f32_e32 v3, v3, v11
	ds_bpermute_b32 v11, v7, v3
	s_and_saveexec_b64 s[6:7], vcc
	s_cbranch_execz .LBB9_30
; %bb.29:
	s_waitcnt lgkmcnt(0)
	v_add_f32_e32 v3, v3, v11
	ds_write_b32 v9, v3
.LBB9_30:
	s_or_b64 exec, exec, s[6:7]
	v_mov_b32_e32 v3, 0
	s_waitcnt lgkmcnt(0)
	s_barrier
	s_and_saveexec_b64 s[6:7], s[0:1]
	s_cbranch_execnz .LBB9_33
; %bb.31:
	s_or_b64 exec, exec, s[6:7]
	s_and_saveexec_b64 s[0:1], s[2:3]
	s_cbranch_execnz .LBB9_34
.LBB9_32:
	s_or_b64 exec, exec, s[0:1]
	v_cmp_eq_u32_e32 vcc, 0, v0
	s_and_saveexec_b64 s[0:1], vcc
	s_cbranch_execnz .LBB9_35
	s_branch .LBB9_47
.LBB9_33:
	ds_read_b32 v3, v10
	s_or_b64 exec, exec, s[6:7]
	s_and_saveexec_b64 s[0:1], s[2:3]
	s_cbranch_execz .LBB9_32
.LBB9_34:
	s_waitcnt lgkmcnt(0)
	ds_bpermute_b32 v1, v1, v3
	s_waitcnt lgkmcnt(0)
	v_add_f32_e32 v1, v3, v1
	ds_bpermute_b32 v2, v2, v1
	s_waitcnt lgkmcnt(0)
	v_add_f32_e32 v1, v1, v2
	ds_bpermute_b32 v2, v4, v1
	s_waitcnt lgkmcnt(0)
	v_add_f32_e32 v1, v1, v2
	ds_bpermute_b32 v2, v5, v1
	s_waitcnt lgkmcnt(0)
	v_add_f32_e32 v1, v1, v2
	ds_bpermute_b32 v2, v6, v1
	s_waitcnt lgkmcnt(0)
	v_add_f32_e32 v1, v1, v2
	ds_bpermute_b32 v2, v7, v1
	s_waitcnt lgkmcnt(0)
	v_add_f32_e32 v3, v1, v2
	s_or_b64 exec, exec, s[0:1]
	v_cmp_eq_u32_e32 vcc, 0, v0
	s_and_saveexec_b64 s[0:1], vcc
	s_cbranch_execz .LBB9_47
.LBB9_35:
	s_mov_b64 s[2:3], exec
	v_bfrev_b32_e32 v2, 1
.LBB9_36:                               ; =>This Inner Loop Header: Depth=1
	s_ff1_i32_b64 s6, s[2:3]
	v_readlane_b32 s12, v8, s6
	s_lshl_b64 s[6:7], 1, s6
	s_andn2_b64 s[2:3], s[2:3], s[6:7]
	s_cmp_lg_u64 s[2:3], 0
	v_add_f32_e32 v2, s12, v2
	s_cbranch_scc1 .LBB9_36
; %bb.37:
	v_mbcnt_lo_u32_b32 v0, exec_lo, 0
	v_mbcnt_hi_u32_b32 v0, exec_hi, v0
	v_cmp_eq_u32_e32 vcc, 0, v0
	s_and_saveexec_b64 s[2:3], vcc
	s_xor_b64 s[2:3], exec, s[2:3]
	s_cbranch_execz .LBB9_41
; %bb.38:
	s_load_dword s12, s[10:11], 0x0
	s_mov_b64 s[6:7], 0
	v_mov_b32_e32 v4, 0
	s_waitcnt lgkmcnt(0)
	v_mov_b32_e32 v1, s12
.LBB9_39:                               ; =>This Inner Loop Header: Depth=1
	v_add_f32_e32 v0, v1, v2
	global_atomic_cmpswap v0, v4, v[0:1], s[10:11] glc
	s_waitcnt vmcnt(0)
	v_cmp_eq_u32_e32 vcc, v0, v1
	s_or_b64 s[6:7], vcc, s[6:7]
	v_mov_b32_e32 v1, v0
	s_andn2_b64 exec, exec, s[6:7]
	s_cbranch_execnz .LBB9_39
; %bb.40:
	s_or_b64 exec, exec, s[6:7]
.LBB9_41:
	s_or_b64 exec, exec, s[2:3]
	s_mov_b64 s[2:3], exec
	v_bfrev_b32_e32 v2, 1
.LBB9_42:                               ; =>This Inner Loop Header: Depth=1
	s_ff1_i32_b64 s6, s[2:3]
	s_waitcnt lgkmcnt(0)
	v_readlane_b32 s10, v3, s6
	s_lshl_b64 s[6:7], 1, s6
	s_andn2_b64 s[2:3], s[2:3], s[6:7]
	s_cmp_lg_u64 s[2:3], 0
	v_add_f32_e32 v2, s10, v2
	s_cbranch_scc1 .LBB9_42
; %bb.43:
	v_mbcnt_lo_u32_b32 v0, exec_lo, 0
	v_mbcnt_hi_u32_b32 v0, exec_hi, v0
	v_cmp_eq_u32_e32 vcc, 0, v0
	s_and_saveexec_b64 s[2:3], vcc
	s_xor_b64 s[2:3], exec, s[2:3]
	s_cbranch_execz .LBB9_47
; %bb.44:
	v_mov_b32_e32 v3, 0
	global_load_dword v1, v3, s[8:9]
	s_mov_b64 s[2:3], 0
.LBB9_45:                               ; =>This Inner Loop Header: Depth=1
	s_waitcnt vmcnt(0)
	v_add_f32_e32 v0, v1, v2
	global_atomic_cmpswap v0, v3, v[0:1], s[8:9] glc
	s_waitcnt vmcnt(0)
	v_cmp_eq_u32_e32 vcc, v0, v1
	s_or_b64 s[2:3], vcc, s[2:3]
	v_mov_b32_e32 v1, v0
	s_andn2_b64 exec, exec, s[2:3]
	s_cbranch_execnz .LBB9_45
; %bb.46:
	s_or_b64 exec, exec, s[2:3]
.LBB9_47:
	s_or_b64 exec, exec, s[0:1]
	s_andn2_b64 s[22:23], s[22:23], exec
	s_or_b64 exec, exec, s[4:5]
	s_mov_b64 s[0:1], 0
	s_and_saveexec_b64 s[2:3], s[22:23]
	s_cbranch_execz .LBB9_3
.LBB9_48:
	s_mov_b64 s[0:1], exec
	s_trap 2
	s_or_b64 exec, exec, s[2:3]
	s_and_saveexec_b64 s[2:3], s[20:21]
	s_cbranch_execz .LBB9_4
.LBB9_49:
	s_or_b64 s[0:1], s[0:1], exec
	s_trap 2
	s_or_b64 exec, exec, s[2:3]
	s_and_saveexec_b64 s[2:3], s[0:1]
	s_cbranch_execz .LBB9_5
.LBB9_50:
	; divergent unreachable
	s_endpgm
	.section	.rodata,"a",@progbits
	.p2align	6, 0x0
	.amdhsa_kernel _ZN2at6native12_GLOBAL__N_125nll_loss2d_forward_kernelIfflEEvPT_S4_PKS3_PKlS6_iiil
		.amdhsa_group_segment_fixed_size 8192
		.amdhsa_private_segment_fixed_size 0
		.amdhsa_kernarg_size 320
		.amdhsa_user_sgpr_count 6
		.amdhsa_user_sgpr_private_segment_buffer 1
		.amdhsa_user_sgpr_dispatch_ptr 0
		.amdhsa_user_sgpr_queue_ptr 0
		.amdhsa_user_sgpr_kernarg_segment_ptr 1
		.amdhsa_user_sgpr_dispatch_id 0
		.amdhsa_user_sgpr_flat_scratch_init 0
		.amdhsa_user_sgpr_private_segment_size 0
		.amdhsa_uses_dynamic_stack 0
		.amdhsa_system_sgpr_private_segment_wavefront_offset 0
		.amdhsa_system_sgpr_workgroup_id_x 1
		.amdhsa_system_sgpr_workgroup_id_y 0
		.amdhsa_system_sgpr_workgroup_id_z 0
		.amdhsa_system_sgpr_workgroup_info 0
		.amdhsa_system_vgpr_workitem_id 0
		.amdhsa_next_free_vgpr 29
		.amdhsa_next_free_sgpr 61
		.amdhsa_reserve_vcc 1
		.amdhsa_reserve_flat_scratch 0
		.amdhsa_float_round_mode_32 0
		.amdhsa_float_round_mode_16_64 0
		.amdhsa_float_denorm_mode_32 3
		.amdhsa_float_denorm_mode_16_64 3
		.amdhsa_dx10_clamp 1
		.amdhsa_ieee_mode 1
		.amdhsa_fp16_overflow 0
		.amdhsa_exception_fp_ieee_invalid_op 0
		.amdhsa_exception_fp_denorm_src 0
		.amdhsa_exception_fp_ieee_div_zero 0
		.amdhsa_exception_fp_ieee_overflow 0
		.amdhsa_exception_fp_ieee_underflow 0
		.amdhsa_exception_fp_ieee_inexact 0
		.amdhsa_exception_int_div_zero 0
	.end_amdhsa_kernel
	.section	.text._ZN2at6native12_GLOBAL__N_125nll_loss2d_forward_kernelIfflEEvPT_S4_PKS3_PKlS6_iiil,"axG",@progbits,_ZN2at6native12_GLOBAL__N_125nll_loss2d_forward_kernelIfflEEvPT_S4_PKS3_PKlS6_iiil,comdat
.Lfunc_end9:
	.size	_ZN2at6native12_GLOBAL__N_125nll_loss2d_forward_kernelIfflEEvPT_S4_PKS3_PKlS6_iiil, .Lfunc_end9-_ZN2at6native12_GLOBAL__N_125nll_loss2d_forward_kernelIfflEEvPT_S4_PKS3_PKlS6_iiil
                                        ; -- End function
	.set _ZN2at6native12_GLOBAL__N_125nll_loss2d_forward_kernelIfflEEvPT_S4_PKS3_PKlS6_iiil.num_vgpr, 13
	.set _ZN2at6native12_GLOBAL__N_125nll_loss2d_forward_kernelIfflEEvPT_S4_PKS3_PKlS6_iiil.num_agpr, 0
	.set _ZN2at6native12_GLOBAL__N_125nll_loss2d_forward_kernelIfflEEvPT_S4_PKS3_PKlS6_iiil.numbered_sgpr, 42
	.set _ZN2at6native12_GLOBAL__N_125nll_loss2d_forward_kernelIfflEEvPT_S4_PKS3_PKlS6_iiil.num_named_barrier, 0
	.set _ZN2at6native12_GLOBAL__N_125nll_loss2d_forward_kernelIfflEEvPT_S4_PKS3_PKlS6_iiil.private_seg_size, 0
	.set _ZN2at6native12_GLOBAL__N_125nll_loss2d_forward_kernelIfflEEvPT_S4_PKS3_PKlS6_iiil.uses_vcc, 1
	.set _ZN2at6native12_GLOBAL__N_125nll_loss2d_forward_kernelIfflEEvPT_S4_PKS3_PKlS6_iiil.uses_flat_scratch, 0
	.set _ZN2at6native12_GLOBAL__N_125nll_loss2d_forward_kernelIfflEEvPT_S4_PKS3_PKlS6_iiil.has_dyn_sized_stack, 0
	.set _ZN2at6native12_GLOBAL__N_125nll_loss2d_forward_kernelIfflEEvPT_S4_PKS3_PKlS6_iiil.has_recursion, 0
	.set _ZN2at6native12_GLOBAL__N_125nll_loss2d_forward_kernelIfflEEvPT_S4_PKS3_PKlS6_iiil.has_indirect_call, 0
	.section	.AMDGPU.csdata,"",@progbits
; Kernel info:
; codeLenInByte = 1892
; TotalNumSgprs: 46
; NumVgprs: 13
; ScratchSize: 0
; MemoryBound: 0
; FloatMode: 240
; IeeeMode: 1
; LDSByteSize: 8192 bytes/workgroup (compile time only)
; SGPRBlocks: 8
; VGPRBlocks: 7
; NumSGPRsForWavesPerEU: 65
; NumVGPRsForWavesPerEU: 29
; Occupancy: 8
; WaveLimiterHint : 1
; COMPUTE_PGM_RSRC2:SCRATCH_EN: 0
; COMPUTE_PGM_RSRC2:USER_SGPR: 6
; COMPUTE_PGM_RSRC2:TRAP_HANDLER: 0
; COMPUTE_PGM_RSRC2:TGID_X_EN: 1
; COMPUTE_PGM_RSRC2:TGID_Y_EN: 0
; COMPUTE_PGM_RSRC2:TGID_Z_EN: 0
; COMPUTE_PGM_RSRC2:TIDIG_COMP_CNT: 0
	.section	.text._ZN2at6native12_GLOBAL__N_125nll_loss2d_forward_kernelIN3c104HalfEfiEEvPT_S6_PKS5_PKlS8_iiil,"axG",@progbits,_ZN2at6native12_GLOBAL__N_125nll_loss2d_forward_kernelIN3c104HalfEfiEEvPT_S6_PKS5_PKlS8_iiil,comdat
	.globl	_ZN2at6native12_GLOBAL__N_125nll_loss2d_forward_kernelIN3c104HalfEfiEEvPT_S6_PKS5_PKlS8_iiil ; -- Begin function _ZN2at6native12_GLOBAL__N_125nll_loss2d_forward_kernelIN3c104HalfEfiEEvPT_S6_PKS5_PKlS8_iiil
	.p2align	8
	.type	_ZN2at6native12_GLOBAL__N_125nll_loss2d_forward_kernelIN3c104HalfEfiEEvPT_S6_PKS5_PKlS8_iiil,@function
_ZN2at6native12_GLOBAL__N_125nll_loss2d_forward_kernelIN3c104HalfEfiEEvPT_S6_PKS5_PKlS8_iiil: ; @_ZN2at6native12_GLOBAL__N_125nll_loss2d_forward_kernelIN3c104HalfEfiEEvPT_S6_PKS5_PKlS8_iiil
; %bb.0:
	s_load_dwordx4 s[16:19], s[4:5], 0x28
	s_load_dwordx2 s[24:25], s[4:5], 0x20
	s_load_dwordx8 s[8:15], s[4:5], 0x0
	s_load_dword s2, s[4:5], 0x4c
	s_mov_b64 s[0:1], -1
	s_mov_b64 s[22:23], 0
	s_waitcnt lgkmcnt(0)
	v_cvt_f32_u32_e32 v1, s18
	s_sub_i32 s3, 0, s18
	s_mov_b64 s[20:21], 0
	v_mov_b32_e32 v3, 0
	v_rcp_iflag_f32_e32 v2, v1
	v_mov_b32_e32 v1, 0
	v_mul_f32_e32 v2, 0x4f7ffffe, v2
	v_cvt_u32_f32_e32 v2, v2
	v_readfirstlane_b32 s7, v2
	s_mul_i32 s3, s3, s7
	s_mul_hi_u32 s3, s7, s3
	s_add_i32 s7, s7, s3
	s_mul_hi_u32 s3, s6, s7
	s_mul_i32 s7, s3, s18
	s_sub_i32 s7, s6, s7
	s_add_i32 s19, s3, 1
	s_sub_i32 s26, s7, s18
	s_cmp_ge_u32 s7, s18
	s_cselect_b32 s3, s19, s3
	s_cselect_b32 s7, s26, s7
	s_add_i32 s19, s3, 1
	s_cmp_ge_u32 s7, s18
	s_cselect_b32 s3, s19, s3
	s_and_b32 s33, s2, 0xffff
	s_mul_i32 s2, s3, s18
	s_sub_i32 s2, s6, s2
	s_mul_i32 s2, s2, s33
	v_add_u32_e32 v7, s2, v0
	v_cmp_gt_i32_e32 vcc, s17, v7
	s_and_saveexec_b64 s[6:7], vcc
	s_cbranch_execnz .LBB10_6
; %bb.1:
	s_or_b64 exec, exec, s[6:7]
	s_and_saveexec_b64 s[2:3], s[0:1]
	s_xor_b64 s[4:5], exec, s[2:3]
	s_cbranch_execnz .LBB10_22
.LBB10_2:
	s_or_b64 exec, exec, s[4:5]
	s_mov_b64 s[0:1], 0
	s_and_saveexec_b64 s[2:3], s[22:23]
	s_cbranch_execnz .LBB10_48
.LBB10_3:
	s_or_b64 exec, exec, s[2:3]
	s_and_saveexec_b64 s[2:3], s[20:21]
	s_cbranch_execnz .LBB10_49
.LBB10_4:
	s_or_b64 exec, exec, s[2:3]
	s_and_saveexec_b64 s[2:3], s[0:1]
	s_cbranch_execnz .LBB10_50
.LBB10_5:
	s_endpgm
.LBB10_6:
	s_mul_i32 s3, s3, s17
	s_cmp_lg_u64 s[24:25], 0
	s_cselect_b64 s[0:1], -1, 0
	s_add_i32 s2, s2, s3
	v_add_u32_e32 v1, s2, v0
	v_ashrrev_i32_e32 v2, 31, v1
	s_load_dwordx2 s[4:5], s[4:5], 0x38
	v_lshlrev_b64 v[1:2], 3, v[1:2]
	s_mul_i32 s20, s18, s33
	v_mov_b32_e32 v3, s15
	v_add_co_u32_e32 v1, vcc, s14, v1
	v_addc_co_u32_e32 v2, vcc, v3, v2, vcc
	s_ashr_i32 s21, s20, 31
	v_cndmask_b32_e64 v3, 0, 1, s[0:1]
	s_mul_i32 s38, s3, s16
	s_mov_b64 s[18:19], 0
	s_lshl_b64 s[26:27], s[20:21], 3
	v_mov_b32_e32 v4, 0
	v_cmp_ne_u32_e64 s[0:1], 1, v3
	v_mov_b32_e32 v8, 0
	v_mov_b32_e32 v9, 0
                                        ; implicit-def: $sgpr22_sgpr23
                                        ; implicit-def: $sgpr14_sgpr15
	s_branch .LBB10_8
.LBB10_7:                               ;   in Loop: Header=BB10_8 Depth=1
	s_or_b64 exec, exec, s[36:37]
	s_xor_b64 s[30:31], s[30:31], -1
	s_xor_b64 s[2:3], s[2:3], -1
	s_and_b64 s[28:29], exec, s[28:29]
	s_or_b64 s[18:19], s[28:29], s[18:19]
	s_andn2_b64 s[14:15], s[14:15], exec
	s_and_b64 s[28:29], s[30:31], exec
	s_andn2_b64 s[22:23], s[22:23], exec
	s_and_b64 s[2:3], s[2:3], exec
	s_or_b64 s[14:15], s[14:15], s[28:29]
	s_or_b64 s[22:23], s[22:23], s[2:3]
	s_andn2_b64 exec, exec, s[18:19]
	s_cbranch_execz .LBB10_19
.LBB10_8:                               ; =>This Inner Loop Header: Depth=1
	global_load_dwordx2 v[5:6], v[1:2], off
	s_mov_b64 s[34:35], -1
                                        ; implicit-def: $sgpr2_sgpr3
                                        ; implicit-def: $sgpr30_sgpr31
	s_waitcnt vmcnt(0)
	v_ashrrev_i32_e32 v6, 31, v5
	s_waitcnt lgkmcnt(0)
	v_cmp_ne_u64_e32 vcc, s[4:5], v[5:6]
	s_and_saveexec_b64 s[28:29], vcc
	s_cbranch_execz .LBB10_17
; %bb.9:                                ;   in Loop: Header=BB10_8 Depth=1
	v_cmp_lt_i32_e32 vcc, -1, v5
	v_cmp_gt_i32_e64 s[2:3], s16, v5
	s_and_b64 s[40:41], vcc, s[2:3]
	s_mov_b64 s[2:3], -1
	s_mov_b64 s[36:37], 0
	s_mov_b64 s[30:31], 0
	s_and_saveexec_b64 s[34:35], s[40:41]
	s_cbranch_execz .LBB10_16
; %bb.10:                               ;   in Loop: Header=BB10_8 Depth=1
	s_and_b64 vcc, exec, s[0:1]
	s_cbranch_vccnz .LBB10_12
; %bb.11:                               ;   in Loop: Header=BB10_8 Depth=1
	v_lshlrev_b64 v[10:11], 1, v[5:6]
	v_mov_b32_e32 v3, s25
	v_add_co_u32_e32 v10, vcc, s24, v10
	v_addc_co_u32_e32 v11, vcc, v3, v11, vcc
	global_load_ushort v6, v[10:11], off
	s_branch .LBB10_13
.LBB10_12:                              ;   in Loop: Header=BB10_8 Depth=1
	v_mov_b32_e32 v6, 0x3c00
.LBB10_13:                              ;   in Loop: Header=BB10_8 Depth=1
	v_mul_lo_u32 v3, s17, v5
	v_add3_u32 v3, s38, v7, v3
	v_cmp_lt_i32_e32 vcc, -1, v3
	s_and_saveexec_b64 s[2:3], vcc
	s_cbranch_execz .LBB10_15
; %bb.14:                               ;   in Loop: Header=BB10_8 Depth=1
	v_lshlrev_b64 v[10:11], 1, v[3:4]
	v_mov_b32_e32 v3, s13
	v_add_co_u32_e32 v10, vcc, s12, v10
	v_addc_co_u32_e32 v11, vcc, v3, v11, vcc
	global_load_ushort v3, v[10:11], off
	s_waitcnt vmcnt(1)
	v_cvt_f32_f16_e32 v5, v6
	s_mov_b64 s[36:37], exec
	v_add_f32_e32 v9, v9, v5
	s_waitcnt vmcnt(0)
	v_mul_f16_e32 v3, v6, v3
	v_cvt_f32_f16_e32 v3, v3
	v_sub_f32_e32 v8, v8, v3
.LBB10_15:                              ;   in Loop: Header=BB10_8 Depth=1
	s_or_b64 exec, exec, s[2:3]
	s_mov_b64 s[30:31], exec
	s_xor_b64 s[2:3], exec, -1
	s_and_b64 s[36:37], s[36:37], exec
.LBB10_16:                              ;   in Loop: Header=BB10_8 Depth=1
	s_or_b64 exec, exec, s[34:35]
	s_orn2_b64 s[34:35], s[36:37], exec
.LBB10_17:                              ;   in Loop: Header=BB10_8 Depth=1
	s_or_b64 exec, exec, s[28:29]
	s_mov_b64 s[28:29], -1
	s_and_saveexec_b64 s[36:37], s[34:35]
	s_cbranch_execz .LBB10_7
; %bb.18:                               ;   in Loop: Header=BB10_8 Depth=1
	v_mov_b32_e32 v3, s27
	v_add_co_u32_e32 v1, vcc, s26, v1
	v_add_u32_e32 v7, s20, v7
	v_addc_co_u32_e32 v2, vcc, v2, v3, vcc
	v_cmp_le_i32_e32 vcc, s17, v7
	s_andn2_b64 s[30:31], s[30:31], exec
	s_andn2_b64 s[2:3], s[2:3], exec
	s_orn2_b64 s[28:29], vcc, exec
	s_branch .LBB10_7
.LBB10_19:
	s_or_b64 exec, exec, s[18:19]
	s_mov_b64 s[0:1], 0
	s_mov_b64 s[4:5], -1
	v_mov_b32_e32 v1, 0
	s_mov_b64 s[2:3], 0
	v_mov_b32_e32 v3, 0
	s_and_saveexec_b64 s[12:13], s[22:23]
	s_xor_b64 s[12:13], exec, s[12:13]
; %bb.20:
	s_mov_b64 s[2:3], exec
	s_xor_b64 s[4:5], exec, -1
	s_and_b64 s[0:1], s[14:15], exec
	v_mov_b32_e32 v1, v8
	v_mov_b32_e32 v3, v9
; %bb.21:
	s_or_b64 exec, exec, s[12:13]
	s_and_b64 s[20:21], s[4:5], exec
	s_and_b64 s[22:23], s[2:3], exec
	s_orn2_b64 s[0:1], s[0:1], exec
	s_or_b64 exec, exec, s[6:7]
	s_and_saveexec_b64 s[2:3], s[0:1]
	s_xor_b64 s[4:5], exec, s[2:3]
	s_cbranch_execz .LBB10_2
.LBB10_22:
	v_mbcnt_lo_u32_b32 v2, -1, 0
	v_mbcnt_hi_u32_b32 v7, -1, v2
	v_mov_b32_e32 v2, 0x80
	v_lshl_or_b32 v2, v7, 2, v2
	ds_bpermute_b32 v4, v2, v3
	v_and_b32_e32 v8, 63, v7
	v_cmp_gt_u32_e32 vcc, 48, v8
	v_cndmask_b32_e64 v5, 0, 16, vcc
	v_cmp_gt_u32_e32 vcc, 56, v8
	s_waitcnt vmcnt(0) lgkmcnt(0)
	v_add_f32_e32 v6, v3, v4
	v_add_lshl_u32 v3, v5, v7, 2
	ds_bpermute_b32 v5, v3, v6
	v_cndmask_b32_e64 v4, 0, 8, vcc
	v_add_lshl_u32 v4, v4, v7, 2
	v_cmp_gt_u32_e32 vcc, 60, v8
	v_and_b32_e32 v10, 63, v0
	s_waitcnt lgkmcnt(0)
	v_add_f32_e32 v6, v6, v5
	ds_bpermute_b32 v9, v4, v6
	v_cndmask_b32_e64 v5, 0, 4, vcc
	v_add_lshl_u32 v5, v5, v7, 2
	v_cmp_gt_u32_e32 vcc, 62, v8
	s_waitcnt lgkmcnt(0)
	v_add_f32_e32 v9, v6, v9
	ds_bpermute_b32 v11, v5, v9
	v_cndmask_b32_e64 v6, 0, 2, vcc
	v_add_lshl_u32 v6, v6, v7, 2
	v_cmp_ne_u32_e32 vcc, 63, v8
	v_addc_co_u32_e32 v7, vcc, 0, v7, vcc
	s_waitcnt lgkmcnt(0)
	v_add_f32_e32 v9, v9, v11
	ds_bpermute_b32 v11, v6, v9
	v_lshlrev_b32_e32 v7, 2, v7
	v_cmp_eq_u32_e32 vcc, 0, v10
	v_lshrrev_b32_e32 v8, 4, v0
	s_waitcnt lgkmcnt(0)
	s_barrier
	v_add_f32_e32 v9, v9, v11
	ds_bpermute_b32 v11, v7, v9
	s_waitcnt lgkmcnt(0)
	s_and_saveexec_b64 s[0:1], vcc
; %bb.23:
	v_add_f32_e32 v9, v9, v11
	ds_write_b32 v8, v9 offset:4096
; %bb.24:
	s_or_b64 exec, exec, s[0:1]
	s_lshr_b32 s0, s33, 6
	v_cmp_gt_u32_e64 s[0:1], s0, v0
	v_mov_b32_e32 v9, 0
	v_lshlrev_b32_e32 v10, 2, v10
	s_waitcnt lgkmcnt(0)
	s_barrier
	s_and_saveexec_b64 s[2:3], s[0:1]
; %bb.25:
	ds_read_b32 v9, v10 offset:4096
; %bb.26:
	s_or_b64 exec, exec, s[2:3]
	v_cmp_gt_u32_e64 s[2:3], 64, v0
	s_and_saveexec_b64 s[6:7], s[2:3]
	s_cbranch_execz .LBB10_28
; %bb.27:
	s_waitcnt lgkmcnt(0)
	ds_bpermute_b32 v11, v2, v9
	s_waitcnt lgkmcnt(0)
	v_add_f32_e32 v9, v9, v11
	ds_bpermute_b32 v11, v3, v9
	s_waitcnt lgkmcnt(0)
	v_add_f32_e32 v9, v9, v11
	;; [unrolled: 3-line block ×6, first 2 shown]
.LBB10_28:
	s_or_b64 exec, exec, s[6:7]
	ds_bpermute_b32 v11, v2, v1
	s_waitcnt lgkmcnt(0)
	s_barrier
	v_add_f32_e32 v1, v1, v11
	ds_bpermute_b32 v11, v3, v1
	s_waitcnt lgkmcnt(0)
	v_add_f32_e32 v1, v1, v11
	ds_bpermute_b32 v11, v4, v1
	s_waitcnt lgkmcnt(0)
	;; [unrolled: 3-line block ×4, first 2 shown]
	v_add_f32_e32 v1, v1, v11
	ds_bpermute_b32 v11, v7, v1
	s_and_saveexec_b64 s[6:7], vcc
	s_cbranch_execz .LBB10_30
; %bb.29:
	s_waitcnt lgkmcnt(0)
	v_add_f32_e32 v1, v1, v11
	ds_write_b32 v8, v1
.LBB10_30:
	s_or_b64 exec, exec, s[6:7]
	v_mov_b32_e32 v8, 0
	s_waitcnt lgkmcnt(0)
	s_barrier
	s_and_saveexec_b64 s[6:7], s[0:1]
; %bb.31:
	ds_read_b32 v8, v10
; %bb.32:
	s_or_b64 exec, exec, s[6:7]
	s_and_saveexec_b64 s[0:1], s[2:3]
	s_cbranch_execz .LBB10_34
; %bb.33:
	s_waitcnt lgkmcnt(0)
	ds_bpermute_b32 v1, v2, v8
	s_waitcnt lgkmcnt(0)
	v_add_f32_e32 v1, v8, v1
	ds_bpermute_b32 v2, v3, v1
	s_waitcnt lgkmcnt(0)
	v_add_f32_e32 v1, v1, v2
	;; [unrolled: 3-line block ×6, first 2 shown]
.LBB10_34:
	s_or_b64 exec, exec, s[0:1]
	s_mov_b32 s3, 0
	v_cmp_eq_u32_e32 vcc, 0, v0
	s_and_saveexec_b64 s[6:7], vcc
	s_cbranch_execz .LBB10_47
; %bb.35:
	s_and_b32 s2, s10, 2
	s_sub_u32 s0, 0, s2
	s_subb_u32 s1, 0, 0
	s_add_u32 s10, s10, s0
	s_addc_u32 s11, s11, s1
	s_load_dword s14, s[10:11], 0x0
	s_cmp_eq_u64 s[2:3], 0
	v_cvt_f16_f32_e32 v2, v9
	s_cselect_b64 s[0:1], -1, 0
	s_cmp_lg_u32 s2, 0
	s_cselect_b64 s[2:3], -1, 0
	v_cndmask_b32_e64 v0, 0, 1, s[2:3]
	s_mov_b64 s[12:13], 0
	s_waitcnt lgkmcnt(0)
	v_mov_b32_e32 v1, s14
	v_cmp_ne_u32_e64 s[2:3], 1, v0
	s_mov_b32 s16, 0xffff0000
	v_mov_b32_e32 v3, 0
	s_branch .LBB10_37
.LBB10_36:                              ;   in Loop: Header=BB10_37 Depth=1
	global_atomic_cmpswap v0, v3, v[0:1], s[10:11] glc
	s_waitcnt vmcnt(0)
	v_cmp_eq_u32_e32 vcc, v1, v0
	s_or_b64 s[12:13], vcc, s[12:13]
	v_mov_b32_e32 v1, v0
	s_andn2_b64 exec, exec, s[12:13]
	s_cbranch_execz .LBB10_41
.LBB10_37:                              ; =>This Inner Loop Header: Depth=1
	s_mov_b64 vcc, s[0:1]
	v_cndmask_b32_sdwa v0, v1, v1, vcc dst_sel:DWORD dst_unused:UNUSED_PAD src0_sel:WORD_1 src1_sel:DWORD
	v_add_f16_e32 v4, v2, v0
	s_and_b64 vcc, exec, s[2:3]
	s_mov_b64 s[14:15], -1
	s_cbranch_vccnz .LBB10_39
; %bb.38:                               ;   in Loop: Header=BB10_37 Depth=1
	v_and_b32_e32 v0, 0xffff, v1
	v_lshl_or_b32 v0, v4, 16, v0
	s_mov_b64 s[14:15], 0
.LBB10_39:                              ;   in Loop: Header=BB10_37 Depth=1
	s_andn2_b64 vcc, exec, s[14:15]
	s_cbranch_vccnz .LBB10_36
; %bb.40:                               ;   in Loop: Header=BB10_37 Depth=1
	v_and_or_b32 v0, v1, s16, v4
	s_branch .LBB10_36
.LBB10_41:
	s_or_b64 exec, exec, s[12:13]
	s_and_b32 s2, s8, 2
	s_sub_u32 s0, 0, s2
	s_subb_u32 s1, 0, 0
	s_add_u32 s8, s8, s0
	s_addc_u32 s9, s9, s1
	v_mov_b32_e32 v2, 0
	global_load_dword v1, v2, s[8:9]
	s_mov_b32 s3, 0
	s_cmp_eq_u64 s[2:3], 0
	v_cvt_f16_f32_e32 v3, v8
	s_cselect_b64 s[0:1], -1, 0
	s_cmp_lg_u32 s2, 0
	s_cselect_b64 s[2:3], -1, 0
	v_cndmask_b32_e64 v0, 0, 1, s[2:3]
	s_mov_b64 s[10:11], 0
	v_cmp_ne_u32_e64 s[2:3], 1, v0
	s_mov_b32 s14, 0xffff0000
	s_branch .LBB10_43
.LBB10_42:                              ;   in Loop: Header=BB10_43 Depth=1
	global_atomic_cmpswap v0, v2, v[0:1], s[8:9] glc
	s_waitcnt vmcnt(0)
	v_cmp_eq_u32_e32 vcc, v1, v0
	s_or_b64 s[10:11], vcc, s[10:11]
	v_mov_b32_e32 v1, v0
	s_andn2_b64 exec, exec, s[10:11]
	s_cbranch_execz .LBB10_47
.LBB10_43:                              ; =>This Inner Loop Header: Depth=1
	s_mov_b64 vcc, s[0:1]
	s_waitcnt vmcnt(0)
	v_cndmask_b32_sdwa v0, v1, v1, vcc dst_sel:DWORD dst_unused:UNUSED_PAD src0_sel:WORD_1 src1_sel:DWORD
	v_add_f16_e32 v4, v3, v0
	s_and_b64 vcc, exec, s[2:3]
	s_mov_b64 s[12:13], -1
	s_cbranch_vccnz .LBB10_45
; %bb.44:                               ;   in Loop: Header=BB10_43 Depth=1
	v_and_b32_e32 v0, 0xffff, v1
	v_lshl_or_b32 v0, v4, 16, v0
	s_mov_b64 s[12:13], 0
.LBB10_45:                              ;   in Loop: Header=BB10_43 Depth=1
	s_andn2_b64 vcc, exec, s[12:13]
	s_cbranch_vccnz .LBB10_42
; %bb.46:                               ;   in Loop: Header=BB10_43 Depth=1
	v_and_or_b32 v0, v1, s14, v4
	s_branch .LBB10_42
.LBB10_47:
	s_or_b64 exec, exec, s[6:7]
	s_andn2_b64 s[22:23], s[22:23], exec
	s_or_b64 exec, exec, s[4:5]
	s_mov_b64 s[0:1], 0
	s_and_saveexec_b64 s[2:3], s[22:23]
	s_cbranch_execz .LBB10_3
.LBB10_48:
	s_mov_b64 s[0:1], exec
	s_trap 2
	s_or_b64 exec, exec, s[2:3]
	s_and_saveexec_b64 s[2:3], s[20:21]
	s_cbranch_execz .LBB10_4
.LBB10_49:
	s_or_b64 s[0:1], s[0:1], exec
	s_trap 2
	s_or_b64 exec, exec, s[2:3]
	s_and_saveexec_b64 s[2:3], s[0:1]
	s_cbranch_execz .LBB10_5
.LBB10_50:
	; divergent unreachable
	s_endpgm
	.section	.rodata,"a",@progbits
	.p2align	6, 0x0
	.amdhsa_kernel _ZN2at6native12_GLOBAL__N_125nll_loss2d_forward_kernelIN3c104HalfEfiEEvPT_S6_PKS5_PKlS8_iiil
		.amdhsa_group_segment_fixed_size 8192
		.amdhsa_private_segment_fixed_size 0
		.amdhsa_kernarg_size 320
		.amdhsa_user_sgpr_count 6
		.amdhsa_user_sgpr_private_segment_buffer 1
		.amdhsa_user_sgpr_dispatch_ptr 0
		.amdhsa_user_sgpr_queue_ptr 0
		.amdhsa_user_sgpr_kernarg_segment_ptr 1
		.amdhsa_user_sgpr_dispatch_id 0
		.amdhsa_user_sgpr_flat_scratch_init 0
		.amdhsa_user_sgpr_private_segment_size 0
		.amdhsa_uses_dynamic_stack 0
		.amdhsa_system_sgpr_private_segment_wavefront_offset 0
		.amdhsa_system_sgpr_workgroup_id_x 1
		.amdhsa_system_sgpr_workgroup_id_y 0
		.amdhsa_system_sgpr_workgroup_id_z 0
		.amdhsa_system_sgpr_workgroup_info 0
		.amdhsa_system_vgpr_workitem_id 0
		.amdhsa_next_free_vgpr 29
		.amdhsa_next_free_sgpr 61
		.amdhsa_reserve_vcc 1
		.amdhsa_reserve_flat_scratch 0
		.amdhsa_float_round_mode_32 0
		.amdhsa_float_round_mode_16_64 0
		.amdhsa_float_denorm_mode_32 3
		.amdhsa_float_denorm_mode_16_64 3
		.amdhsa_dx10_clamp 1
		.amdhsa_ieee_mode 1
		.amdhsa_fp16_overflow 0
		.amdhsa_exception_fp_ieee_invalid_op 0
		.amdhsa_exception_fp_denorm_src 0
		.amdhsa_exception_fp_ieee_div_zero 0
		.amdhsa_exception_fp_ieee_overflow 0
		.amdhsa_exception_fp_ieee_underflow 0
		.amdhsa_exception_fp_ieee_inexact 0
		.amdhsa_exception_int_div_zero 0
	.end_amdhsa_kernel
	.section	.text._ZN2at6native12_GLOBAL__N_125nll_loss2d_forward_kernelIN3c104HalfEfiEEvPT_S6_PKS5_PKlS8_iiil,"axG",@progbits,_ZN2at6native12_GLOBAL__N_125nll_loss2d_forward_kernelIN3c104HalfEfiEEvPT_S6_PKS5_PKlS8_iiil,comdat
.Lfunc_end10:
	.size	_ZN2at6native12_GLOBAL__N_125nll_loss2d_forward_kernelIN3c104HalfEfiEEvPT_S6_PKS5_PKlS8_iiil, .Lfunc_end10-_ZN2at6native12_GLOBAL__N_125nll_loss2d_forward_kernelIN3c104HalfEfiEEvPT_S6_PKS5_PKlS8_iiil
                                        ; -- End function
	.set _ZN2at6native12_GLOBAL__N_125nll_loss2d_forward_kernelIN3c104HalfEfiEEvPT_S6_PKS5_PKlS8_iiil.num_vgpr, 12
	.set _ZN2at6native12_GLOBAL__N_125nll_loss2d_forward_kernelIN3c104HalfEfiEEvPT_S6_PKS5_PKlS8_iiil.num_agpr, 0
	.set _ZN2at6native12_GLOBAL__N_125nll_loss2d_forward_kernelIN3c104HalfEfiEEvPT_S6_PKS5_PKlS8_iiil.numbered_sgpr, 42
	.set _ZN2at6native12_GLOBAL__N_125nll_loss2d_forward_kernelIN3c104HalfEfiEEvPT_S6_PKS5_PKlS8_iiil.num_named_barrier, 0
	.set _ZN2at6native12_GLOBAL__N_125nll_loss2d_forward_kernelIN3c104HalfEfiEEvPT_S6_PKS5_PKlS8_iiil.private_seg_size, 0
	.set _ZN2at6native12_GLOBAL__N_125nll_loss2d_forward_kernelIN3c104HalfEfiEEvPT_S6_PKS5_PKlS8_iiil.uses_vcc, 1
	.set _ZN2at6native12_GLOBAL__N_125nll_loss2d_forward_kernelIN3c104HalfEfiEEvPT_S6_PKS5_PKlS8_iiil.uses_flat_scratch, 0
	.set _ZN2at6native12_GLOBAL__N_125nll_loss2d_forward_kernelIN3c104HalfEfiEEvPT_S6_PKS5_PKlS8_iiil.has_dyn_sized_stack, 0
	.set _ZN2at6native12_GLOBAL__N_125nll_loss2d_forward_kernelIN3c104HalfEfiEEvPT_S6_PKS5_PKlS8_iiil.has_recursion, 0
	.set _ZN2at6native12_GLOBAL__N_125nll_loss2d_forward_kernelIN3c104HalfEfiEEvPT_S6_PKS5_PKlS8_iiil.has_indirect_call, 0
	.section	.AMDGPU.csdata,"",@progbits
; Kernel info:
; codeLenInByte = 1912
; TotalNumSgprs: 46
; NumVgprs: 12
; ScratchSize: 0
; MemoryBound: 0
; FloatMode: 240
; IeeeMode: 1
; LDSByteSize: 8192 bytes/workgroup (compile time only)
; SGPRBlocks: 8
; VGPRBlocks: 7
; NumSGPRsForWavesPerEU: 65
; NumVGPRsForWavesPerEU: 29
; Occupancy: 8
; WaveLimiterHint : 1
; COMPUTE_PGM_RSRC2:SCRATCH_EN: 0
; COMPUTE_PGM_RSRC2:USER_SGPR: 6
; COMPUTE_PGM_RSRC2:TRAP_HANDLER: 0
; COMPUTE_PGM_RSRC2:TGID_X_EN: 1
; COMPUTE_PGM_RSRC2:TGID_Y_EN: 0
; COMPUTE_PGM_RSRC2:TGID_Z_EN: 0
; COMPUTE_PGM_RSRC2:TIDIG_COMP_CNT: 0
	.section	.text._ZN2at6native12_GLOBAL__N_138nll_loss2d_forward_size_average_kernelIN3c104HalfEEEvPT_PKS5_,"axG",@progbits,_ZN2at6native12_GLOBAL__N_138nll_loss2d_forward_size_average_kernelIN3c104HalfEEEvPT_PKS5_,comdat
	.globl	_ZN2at6native12_GLOBAL__N_138nll_loss2d_forward_size_average_kernelIN3c104HalfEEEvPT_PKS5_ ; -- Begin function _ZN2at6native12_GLOBAL__N_138nll_loss2d_forward_size_average_kernelIN3c104HalfEEEvPT_PKS5_
	.p2align	8
	.type	_ZN2at6native12_GLOBAL__N_138nll_loss2d_forward_size_average_kernelIN3c104HalfEEEvPT_PKS5_,@function
_ZN2at6native12_GLOBAL__N_138nll_loss2d_forward_size_average_kernelIN3c104HalfEEEvPT_PKS5_: ; @_ZN2at6native12_GLOBAL__N_138nll_loss2d_forward_size_average_kernelIN3c104HalfEEEvPT_PKS5_
; %bb.0:
	s_load_dwordx4 s[0:3], s[4:5], 0x0
	v_mov_b32_e32 v0, 0
	s_waitcnt lgkmcnt(0)
	global_load_ushort v1, v0, s[2:3]
	global_load_ushort v2, v0, s[0:1]
	s_waitcnt vmcnt(1)
	v_cvt_f32_f16_e32 v3, v1
	s_waitcnt vmcnt(0)
	v_cvt_f32_f16_e32 v4, v2
	v_rcp_f32_e32 v5, v3
	v_mul_f32_e32 v6, v4, v5
	v_mad_f32 v7, -v3, v6, v4
	v_mac_f32_e32 v6, v7, v5
	v_mad_f32 v3, -v3, v6, v4
	v_mul_f32_e32 v3, v3, v5
	v_and_b32_e32 v3, 0xff800000, v3
	v_add_f32_e32 v3, v3, v6
	v_cvt_f16_f32_e32 v3, v3
	v_div_fixup_f16 v1, v3, v1, v2
	global_store_short v0, v1, s[0:1]
	s_endpgm
	.section	.rodata,"a",@progbits
	.p2align	6, 0x0
	.amdhsa_kernel _ZN2at6native12_GLOBAL__N_138nll_loss2d_forward_size_average_kernelIN3c104HalfEEEvPT_PKS5_
		.amdhsa_group_segment_fixed_size 0
		.amdhsa_private_segment_fixed_size 0
		.amdhsa_kernarg_size 16
		.amdhsa_user_sgpr_count 6
		.amdhsa_user_sgpr_private_segment_buffer 1
		.amdhsa_user_sgpr_dispatch_ptr 0
		.amdhsa_user_sgpr_queue_ptr 0
		.amdhsa_user_sgpr_kernarg_segment_ptr 1
		.amdhsa_user_sgpr_dispatch_id 0
		.amdhsa_user_sgpr_flat_scratch_init 0
		.amdhsa_user_sgpr_private_segment_size 0
		.amdhsa_uses_dynamic_stack 0
		.amdhsa_system_sgpr_private_segment_wavefront_offset 0
		.amdhsa_system_sgpr_workgroup_id_x 1
		.amdhsa_system_sgpr_workgroup_id_y 0
		.amdhsa_system_sgpr_workgroup_id_z 0
		.amdhsa_system_sgpr_workgroup_info 0
		.amdhsa_system_vgpr_workitem_id 0
		.amdhsa_next_free_vgpr 8
		.amdhsa_next_free_sgpr 6
		.amdhsa_reserve_vcc 0
		.amdhsa_reserve_flat_scratch 0
		.amdhsa_float_round_mode_32 0
		.amdhsa_float_round_mode_16_64 0
		.amdhsa_float_denorm_mode_32 3
		.amdhsa_float_denorm_mode_16_64 3
		.amdhsa_dx10_clamp 1
		.amdhsa_ieee_mode 1
		.amdhsa_fp16_overflow 0
		.amdhsa_exception_fp_ieee_invalid_op 0
		.amdhsa_exception_fp_denorm_src 0
		.amdhsa_exception_fp_ieee_div_zero 0
		.amdhsa_exception_fp_ieee_overflow 0
		.amdhsa_exception_fp_ieee_underflow 0
		.amdhsa_exception_fp_ieee_inexact 0
		.amdhsa_exception_int_div_zero 0
	.end_amdhsa_kernel
	.section	.text._ZN2at6native12_GLOBAL__N_138nll_loss2d_forward_size_average_kernelIN3c104HalfEEEvPT_PKS5_,"axG",@progbits,_ZN2at6native12_GLOBAL__N_138nll_loss2d_forward_size_average_kernelIN3c104HalfEEEvPT_PKS5_,comdat
.Lfunc_end11:
	.size	_ZN2at6native12_GLOBAL__N_138nll_loss2d_forward_size_average_kernelIN3c104HalfEEEvPT_PKS5_, .Lfunc_end11-_ZN2at6native12_GLOBAL__N_138nll_loss2d_forward_size_average_kernelIN3c104HalfEEEvPT_PKS5_
                                        ; -- End function
	.set _ZN2at6native12_GLOBAL__N_138nll_loss2d_forward_size_average_kernelIN3c104HalfEEEvPT_PKS5_.num_vgpr, 8
	.set _ZN2at6native12_GLOBAL__N_138nll_loss2d_forward_size_average_kernelIN3c104HalfEEEvPT_PKS5_.num_agpr, 0
	.set _ZN2at6native12_GLOBAL__N_138nll_loss2d_forward_size_average_kernelIN3c104HalfEEEvPT_PKS5_.numbered_sgpr, 6
	.set _ZN2at6native12_GLOBAL__N_138nll_loss2d_forward_size_average_kernelIN3c104HalfEEEvPT_PKS5_.num_named_barrier, 0
	.set _ZN2at6native12_GLOBAL__N_138nll_loss2d_forward_size_average_kernelIN3c104HalfEEEvPT_PKS5_.private_seg_size, 0
	.set _ZN2at6native12_GLOBAL__N_138nll_loss2d_forward_size_average_kernelIN3c104HalfEEEvPT_PKS5_.uses_vcc, 0
	.set _ZN2at6native12_GLOBAL__N_138nll_loss2d_forward_size_average_kernelIN3c104HalfEEEvPT_PKS5_.uses_flat_scratch, 0
	.set _ZN2at6native12_GLOBAL__N_138nll_loss2d_forward_size_average_kernelIN3c104HalfEEEvPT_PKS5_.has_dyn_sized_stack, 0
	.set _ZN2at6native12_GLOBAL__N_138nll_loss2d_forward_size_average_kernelIN3c104HalfEEEvPT_PKS5_.has_recursion, 0
	.set _ZN2at6native12_GLOBAL__N_138nll_loss2d_forward_size_average_kernelIN3c104HalfEEEvPT_PKS5_.has_indirect_call, 0
	.section	.AMDGPU.csdata,"",@progbits
; Kernel info:
; codeLenInByte = 116
; TotalNumSgprs: 10
; NumVgprs: 8
; ScratchSize: 0
; MemoryBound: 0
; FloatMode: 240
; IeeeMode: 1
; LDSByteSize: 0 bytes/workgroup (compile time only)
; SGPRBlocks: 1
; VGPRBlocks: 1
; NumSGPRsForWavesPerEU: 10
; NumVGPRsForWavesPerEU: 8
; Occupancy: 10
; WaveLimiterHint : 0
; COMPUTE_PGM_RSRC2:SCRATCH_EN: 0
; COMPUTE_PGM_RSRC2:USER_SGPR: 6
; COMPUTE_PGM_RSRC2:TRAP_HANDLER: 0
; COMPUTE_PGM_RSRC2:TGID_X_EN: 1
; COMPUTE_PGM_RSRC2:TGID_Y_EN: 0
; COMPUTE_PGM_RSRC2:TGID_Z_EN: 0
; COMPUTE_PGM_RSRC2:TIDIG_COMP_CNT: 0
	.section	.text._ZN2at6native12_GLOBAL__N_125nll_loss2d_forward_kernelIN3c104HalfEflEEvPT_S6_PKS5_PKlS8_iiil,"axG",@progbits,_ZN2at6native12_GLOBAL__N_125nll_loss2d_forward_kernelIN3c104HalfEflEEvPT_S6_PKS5_PKlS8_iiil,comdat
	.globl	_ZN2at6native12_GLOBAL__N_125nll_loss2d_forward_kernelIN3c104HalfEflEEvPT_S6_PKS5_PKlS8_iiil ; -- Begin function _ZN2at6native12_GLOBAL__N_125nll_loss2d_forward_kernelIN3c104HalfEflEEvPT_S6_PKS5_PKlS8_iiil
	.p2align	8
	.type	_ZN2at6native12_GLOBAL__N_125nll_loss2d_forward_kernelIN3c104HalfEflEEvPT_S6_PKS5_PKlS8_iiil,@function
_ZN2at6native12_GLOBAL__N_125nll_loss2d_forward_kernelIN3c104HalfEflEEvPT_S6_PKS5_PKlS8_iiil: ; @_ZN2at6native12_GLOBAL__N_125nll_loss2d_forward_kernelIN3c104HalfEflEEvPT_S6_PKS5_PKlS8_iiil
; %bb.0:
	s_load_dwordx4 s[16:19], s[4:5], 0x28
	s_load_dwordx2 s[24:25], s[4:5], 0x20
	s_load_dwordx8 s[8:15], s[4:5], 0x0
	s_load_dword s3, s[4:5], 0x4c
	s_mov_b64 s[0:1], -1
	s_mov_b64 s[22:23], 0
	s_waitcnt lgkmcnt(0)
	v_cvt_f32_u32_e32 v1, s18
	s_sub_i32 s2, 0, s18
	v_mov_b32_e32 v3, 0
	s_mov_b64 s[20:21], 0
	v_rcp_iflag_f32_e32 v1, v1
	v_mov_b32_e32 v4, 0
	v_mul_f32_e32 v1, 0x4f7ffffe, v1
	v_cvt_u32_f32_e32 v1, v1
	v_readfirstlane_b32 s7, v1
	s_mul_i32 s2, s2, s7
	s_mul_hi_u32 s2, s7, s2
	s_add_i32 s7, s7, s2
	s_mul_hi_u32 s2, s6, s7
	s_mul_i32 s7, s2, s18
	s_sub_i32 s7, s6, s7
	s_add_i32 s19, s2, 1
	s_sub_i32 s26, s7, s18
	s_cmp_ge_u32 s7, s18
	s_cselect_b32 s2, s19, s2
	s_cselect_b32 s7, s26, s7
	s_add_i32 s19, s2, 1
	s_cmp_ge_u32 s7, s18
	s_cselect_b32 s2, s19, s2
	s_and_b32 s33, s3, 0xffff
	s_mul_i32 s3, s2, s18
	s_sub_i32 s3, s6, s3
	s_mul_i32 s3, s3, s33
	v_add_u32_e32 v1, s3, v0
	v_cmp_gt_i32_e32 vcc, s17, v1
	s_and_saveexec_b64 s[6:7], vcc
	s_cbranch_execnz .LBB12_6
; %bb.1:
	s_or_b64 exec, exec, s[6:7]
	s_and_saveexec_b64 s[2:3], s[0:1]
	s_xor_b64 s[4:5], exec, s[2:3]
	s_cbranch_execnz .LBB12_22
.LBB12_2:
	s_or_b64 exec, exec, s[4:5]
	s_mov_b64 s[0:1], 0
	s_and_saveexec_b64 s[2:3], s[22:23]
	s_cbranch_execnz .LBB12_48
.LBB12_3:
	s_or_b64 exec, exec, s[2:3]
	s_and_saveexec_b64 s[2:3], s[20:21]
	s_cbranch_execnz .LBB12_49
.LBB12_4:
	s_or_b64 exec, exec, s[2:3]
	s_and_saveexec_b64 s[2:3], s[0:1]
	s_cbranch_execnz .LBB12_50
.LBB12_5:
	s_endpgm
.LBB12_6:
	s_ashr_i32 s38, s17, 31
	s_mul_hi_u32 s0, s2, s17
	s_mul_i32 s1, s2, s38
	s_mov_b32 s39, s17
	s_add_i32 s1, s0, s1
	s_mul_i32 s0, s2, s17
	s_ashr_i32 s17, s16, 31
	s_cmp_lg_u64 s[24:25], 0
	s_cselect_b64 s[2:3], -1, 0
	s_lshl_b64 s[22:23], s[0:1], 3
	v_ashrrev_i32_e32 v2, 31, v1
	v_lshlrev_b64 v[3:4], 3, v[1:2]
	s_add_u32 s14, s14, s22
	s_addc_u32 s15, s15, s23
	v_mov_b32_e32 v5, s15
	v_add_co_u32_e32 v3, vcc, s14, v3
	v_addc_co_u32_e32 v4, vcc, v5, v4, vcc
	v_mov_b32_e32 v5, s16
	s_load_dwordx2 s[4:5], s[4:5], 0x38
	v_mad_u64_u32 v[5:6], s[14:15], s0, v5, v[1:2]
	s_mul_i32 s20, s18, s33
	s_mul_i32 s0, s0, s17
	;; [unrolled: 1-line block ×3, first 2 shown]
	s_ashr_i32 s21, s20, 31
	s_add_i32 s0, s0, s1
	v_cndmask_b32_e64 v7, 0, 1, s[2:3]
	s_mov_b64 s[18:19], 0
	s_lshl_b64 s[22:23], s[20:21], 3
	v_add_u32_e32 v6, s0, v6
	v_mov_b32_e32 v2, 0
	v_cmp_ne_u32_e64 s[0:1], 1, v7
	v_mov_b32_e32 v11, 0
                                        ; implicit-def: $sgpr26_sgpr27
                                        ; implicit-def: $sgpr14_sgpr15
	s_branch .LBB12_8
.LBB12_7:                               ;   in Loop: Header=BB12_8 Depth=1
	s_or_b64 exec, exec, s[28:29]
	s_xor_b64 s[28:29], s[30:31], -1
	s_xor_b64 s[2:3], s[2:3], -1
	s_and_b64 s[30:31], exec, s[36:37]
	s_or_b64 s[18:19], s[30:31], s[18:19]
	s_andn2_b64 s[14:15], s[14:15], exec
	s_and_b64 s[28:29], s[28:29], exec
	s_andn2_b64 s[26:27], s[26:27], exec
	s_and_b64 s[2:3], s[2:3], exec
	s_or_b64 s[14:15], s[14:15], s[28:29]
	s_or_b64 s[26:27], s[26:27], s[2:3]
	s_andn2_b64 exec, exec, s[18:19]
	s_cbranch_execz .LBB12_19
.LBB12_8:                               ; =>This Inner Loop Header: Depth=1
	global_load_dwordx2 v[7:8], v[3:4], off
	s_mov_b64 s[34:35], -1
                                        ; implicit-def: $sgpr2_sgpr3
                                        ; implicit-def: $sgpr30_sgpr31
	s_waitcnt vmcnt(0) lgkmcnt(0)
	v_cmp_ne_u64_e32 vcc, s[4:5], v[7:8]
	s_and_saveexec_b64 s[28:29], vcc
	s_cbranch_execz .LBB12_17
; %bb.9:                                ;   in Loop: Header=BB12_8 Depth=1
	v_cmp_lt_i64_e32 vcc, -1, v[7:8]
	v_cmp_gt_i64_e64 s[2:3], s[16:17], v[7:8]
	s_mov_b64 s[36:37], 0
	s_and_b64 s[40:41], vcc, s[2:3]
	s_mov_b64 s[2:3], -1
	s_mov_b64 s[30:31], 0
	s_and_saveexec_b64 s[34:35], s[40:41]
	s_cbranch_execz .LBB12_16
; %bb.10:                               ;   in Loop: Header=BB12_8 Depth=1
	s_and_b64 vcc, exec, s[0:1]
	s_cbranch_vccnz .LBB12_12
; %bb.11:                               ;   in Loop: Header=BB12_8 Depth=1
	v_lshlrev_b64 v[9:10], 1, v[7:8]
	v_mov_b32_e32 v12, s25
	v_add_co_u32_e32 v9, vcc, s24, v9
	v_addc_co_u32_e32 v10, vcc, v12, v10, vcc
	global_load_ushort v12, v[9:10], off
	s_branch .LBB12_13
.LBB12_12:                              ;   in Loop: Header=BB12_8 Depth=1
	v_mov_b32_e32 v12, 0x3c00
.LBB12_13:                              ;   in Loop: Header=BB12_8 Depth=1
	v_mad_u64_u32 v[9:10], s[2:3], v7, s39, v[5:6]
	v_mul_lo_u32 v7, v7, s38
	v_mul_lo_u32 v8, v8, s39
	v_add3_u32 v10, v8, v10, v7
	v_cmp_lt_i64_e32 vcc, -1, v[9:10]
	s_and_saveexec_b64 s[2:3], vcc
	s_cbranch_execz .LBB12_15
; %bb.14:                               ;   in Loop: Header=BB12_8 Depth=1
	v_lshlrev_b64 v[7:8], 1, v[9:10]
	v_mov_b32_e32 v9, s13
	v_add_co_u32_e32 v7, vcc, s12, v7
	v_addc_co_u32_e32 v8, vcc, v9, v8, vcc
	global_load_ushort v7, v[7:8], off
	s_waitcnt vmcnt(1)
	v_cvt_f32_f16_e32 v8, v12
	s_mov_b64 s[36:37], exec
	v_add_f32_e32 v11, v11, v8
	s_waitcnt vmcnt(0)
	v_mul_f16_e32 v7, v12, v7
	v_cvt_f32_f16_e32 v7, v7
	v_sub_f32_e32 v2, v2, v7
.LBB12_15:                              ;   in Loop: Header=BB12_8 Depth=1
	s_or_b64 exec, exec, s[2:3]
	s_mov_b64 s[30:31], exec
	s_xor_b64 s[2:3], exec, -1
	s_and_b64 s[36:37], s[36:37], exec
.LBB12_16:                              ;   in Loop: Header=BB12_8 Depth=1
	s_or_b64 exec, exec, s[34:35]
	s_orn2_b64 s[34:35], s[36:37], exec
.LBB12_17:                              ;   in Loop: Header=BB12_8 Depth=1
	s_or_b64 exec, exec, s[28:29]
	s_mov_b64 s[36:37], -1
	s_and_saveexec_b64 s[28:29], s[34:35]
	s_cbranch_execz .LBB12_7
; %bb.18:                               ;   in Loop: Header=BB12_8 Depth=1
	v_mov_b32_e32 v7, s23
	v_add_co_u32_e32 v3, vcc, s22, v3
	v_addc_co_u32_e32 v4, vcc, v4, v7, vcc
	v_mov_b32_e32 v7, s21
	v_add_co_u32_e32 v5, vcc, s20, v5
	v_add_u32_e32 v1, s20, v1
	v_addc_co_u32_e32 v6, vcc, v6, v7, vcc
	v_cmp_le_i32_e32 vcc, s39, v1
	s_andn2_b64 s[30:31], s[30:31], exec
	s_andn2_b64 s[2:3], s[2:3], exec
	s_orn2_b64 s[36:37], vcc, exec
	s_branch .LBB12_7
.LBB12_19:
	s_or_b64 exec, exec, s[18:19]
	s_mov_b64 s[0:1], 0
	s_mov_b64 s[4:5], -1
	v_mov_b32_e32 v3, 0
	s_mov_b64 s[2:3], 0
	v_mov_b32_e32 v4, 0
	s_and_saveexec_b64 s[12:13], s[26:27]
	s_xor_b64 s[12:13], exec, s[12:13]
; %bb.20:
	s_mov_b64 s[2:3], exec
	s_xor_b64 s[4:5], exec, -1
	s_and_b64 s[0:1], s[14:15], exec
	v_mov_b32_e32 v3, v2
	v_mov_b32_e32 v4, v11
; %bb.21:
	s_or_b64 exec, exec, s[12:13]
	s_and_b64 s[20:21], s[4:5], exec
	s_and_b64 s[22:23], s[2:3], exec
	s_orn2_b64 s[0:1], s[0:1], exec
	s_or_b64 exec, exec, s[6:7]
	s_and_saveexec_b64 s[2:3], s[0:1]
	s_xor_b64 s[4:5], exec, s[2:3]
	s_cbranch_execz .LBB12_2
.LBB12_22:
	v_mbcnt_lo_u32_b32 v1, -1, 0
	v_mbcnt_hi_u32_b32 v7, -1, v1
	v_mov_b32_e32 v1, 0x80
	v_lshl_or_b32 v1, v7, 2, v1
	ds_bpermute_b32 v2, v1, v4
	v_and_b32_e32 v8, 63, v7
	v_cmp_gt_u32_e32 vcc, 48, v8
	v_cndmask_b32_e64 v5, 0, 16, vcc
	v_cmp_gt_u32_e32 vcc, 56, v8
	s_waitcnt lgkmcnt(0)
	v_add_f32_e32 v6, v4, v2
	v_add_lshl_u32 v2, v5, v7, 2
	ds_bpermute_b32 v5, v2, v6
	v_cndmask_b32_e64 v4, 0, 8, vcc
	v_add_lshl_u32 v4, v4, v7, 2
	v_cmp_gt_u32_e32 vcc, 60, v8
	v_and_b32_e32 v10, 63, v0
	s_waitcnt lgkmcnt(0)
	v_add_f32_e32 v6, v6, v5
	ds_bpermute_b32 v9, v4, v6
	v_cndmask_b32_e64 v5, 0, 4, vcc
	v_add_lshl_u32 v5, v5, v7, 2
	v_cmp_gt_u32_e32 vcc, 62, v8
	s_waitcnt lgkmcnt(0)
	v_add_f32_e32 v9, v6, v9
	ds_bpermute_b32 v11, v5, v9
	v_cndmask_b32_e64 v6, 0, 2, vcc
	v_add_lshl_u32 v6, v6, v7, 2
	v_cmp_ne_u32_e32 vcc, 63, v8
	v_addc_co_u32_e32 v7, vcc, 0, v7, vcc
	s_waitcnt lgkmcnt(0)
	v_add_f32_e32 v9, v9, v11
	ds_bpermute_b32 v11, v6, v9
	v_lshlrev_b32_e32 v7, 2, v7
	v_cmp_eq_u32_e32 vcc, 0, v10
	s_waitcnt vmcnt(0) lgkmcnt(0)
	s_barrier
	v_add_f32_e32 v8, v9, v11
	ds_bpermute_b32 v11, v7, v8
	v_lshrrev_b32_e32 v9, 4, v0
	s_and_saveexec_b64 s[0:1], vcc
	s_cbranch_execz .LBB12_24
; %bb.23:
	s_waitcnt lgkmcnt(0)
	v_add_f32_e32 v8, v8, v11
	ds_write_b32 v9, v8 offset:4096
.LBB12_24:
	s_or_b64 exec, exec, s[0:1]
	s_lshr_b32 s0, s33, 6
	v_cmp_gt_u32_e64 s[0:1], s0, v0
	v_mov_b32_e32 v8, 0
	v_lshlrev_b32_e32 v10, 2, v10
	s_waitcnt lgkmcnt(0)
	s_barrier
	s_and_saveexec_b64 s[2:3], s[0:1]
; %bb.25:
	ds_read_b32 v8, v10 offset:4096
; %bb.26:
	s_or_b64 exec, exec, s[2:3]
	v_cmp_gt_u32_e64 s[2:3], 64, v0
	s_and_saveexec_b64 s[6:7], s[2:3]
	s_cbranch_execz .LBB12_28
; %bb.27:
	s_waitcnt lgkmcnt(0)
	ds_bpermute_b32 v11, v1, v8
	s_waitcnt lgkmcnt(0)
	v_add_f32_e32 v8, v8, v11
	ds_bpermute_b32 v11, v2, v8
	s_waitcnt lgkmcnt(0)
	v_add_f32_e32 v8, v8, v11
	;; [unrolled: 3-line block ×6, first 2 shown]
.LBB12_28:
	s_or_b64 exec, exec, s[6:7]
	ds_bpermute_b32 v11, v1, v3
	s_waitcnt lgkmcnt(0)
	s_barrier
	v_add_f32_e32 v3, v3, v11
	ds_bpermute_b32 v11, v2, v3
	s_waitcnt lgkmcnt(0)
	v_add_f32_e32 v3, v3, v11
	ds_bpermute_b32 v11, v4, v3
	s_waitcnt lgkmcnt(0)
	;; [unrolled: 3-line block ×4, first 2 shown]
	v_add_f32_e32 v3, v3, v11
	ds_bpermute_b32 v11, v7, v3
	s_and_saveexec_b64 s[6:7], vcc
	s_cbranch_execz .LBB12_30
; %bb.29:
	s_waitcnt lgkmcnt(0)
	v_add_f32_e32 v3, v3, v11
	ds_write_b32 v9, v3
.LBB12_30:
	s_or_b64 exec, exec, s[6:7]
	v_mov_b32_e32 v3, 0
	s_waitcnt lgkmcnt(0)
	s_barrier
	s_and_saveexec_b64 s[6:7], s[0:1]
; %bb.31:
	ds_read_b32 v3, v10
; %bb.32:
	s_or_b64 exec, exec, s[6:7]
	s_and_saveexec_b64 s[0:1], s[2:3]
	s_cbranch_execz .LBB12_34
; %bb.33:
	s_waitcnt lgkmcnt(0)
	ds_bpermute_b32 v1, v1, v3
	s_waitcnt lgkmcnt(0)
	v_add_f32_e32 v1, v3, v1
	ds_bpermute_b32 v2, v2, v1
	s_waitcnt lgkmcnt(0)
	v_add_f32_e32 v1, v1, v2
	;; [unrolled: 3-line block ×6, first 2 shown]
.LBB12_34:
	s_or_b64 exec, exec, s[0:1]
	s_mov_b32 s3, 0
	v_cmp_eq_u32_e32 vcc, 0, v0
	s_and_saveexec_b64 s[6:7], vcc
	s_cbranch_execz .LBB12_47
; %bb.35:
	s_and_b32 s2, s10, 2
	s_sub_u32 s0, 0, s2
	s_subb_u32 s1, 0, 0
	s_add_u32 s10, s10, s0
	s_addc_u32 s11, s11, s1
	s_load_dword s14, s[10:11], 0x0
	s_cmp_eq_u64 s[2:3], 0
	v_cvt_f16_f32_e32 v2, v8
	s_cselect_b64 s[0:1], -1, 0
	s_cmp_lg_u32 s2, 0
	s_cselect_b64 s[2:3], -1, 0
	v_cndmask_b32_e64 v0, 0, 1, s[2:3]
	s_mov_b64 s[12:13], 0
	s_waitcnt lgkmcnt(0)
	v_mov_b32_e32 v1, s14
	v_cmp_ne_u32_e64 s[2:3], 1, v0
	s_mov_b32 s16, 0xffff0000
	v_mov_b32_e32 v4, 0
	s_branch .LBB12_37
.LBB12_36:                              ;   in Loop: Header=BB12_37 Depth=1
	global_atomic_cmpswap v0, v4, v[0:1], s[10:11] glc
	s_waitcnt vmcnt(0)
	v_cmp_eq_u32_e32 vcc, v1, v0
	s_or_b64 s[12:13], vcc, s[12:13]
	v_mov_b32_e32 v1, v0
	s_andn2_b64 exec, exec, s[12:13]
	s_cbranch_execz .LBB12_41
.LBB12_37:                              ; =>This Inner Loop Header: Depth=1
	s_mov_b64 vcc, s[0:1]
	v_cndmask_b32_sdwa v0, v1, v1, vcc dst_sel:DWORD dst_unused:UNUSED_PAD src0_sel:WORD_1 src1_sel:DWORD
	v_add_f16_e32 v5, v2, v0
	s_and_b64 vcc, exec, s[2:3]
	s_mov_b64 s[14:15], -1
	s_cbranch_vccnz .LBB12_39
; %bb.38:                               ;   in Loop: Header=BB12_37 Depth=1
	v_and_b32_e32 v0, 0xffff, v1
	v_lshl_or_b32 v0, v5, 16, v0
	s_mov_b64 s[14:15], 0
.LBB12_39:                              ;   in Loop: Header=BB12_37 Depth=1
	s_andn2_b64 vcc, exec, s[14:15]
	s_cbranch_vccnz .LBB12_36
; %bb.40:                               ;   in Loop: Header=BB12_37 Depth=1
	v_and_or_b32 v0, v1, s16, v5
	s_branch .LBB12_36
.LBB12_41:
	s_or_b64 exec, exec, s[12:13]
	s_and_b32 s2, s8, 2
	s_sub_u32 s0, 0, s2
	s_subb_u32 s1, 0, 0
	s_add_u32 s8, s8, s0
	s_addc_u32 s9, s9, s1
	v_mov_b32_e32 v2, 0
	global_load_dword v1, v2, s[8:9]
	s_mov_b32 s3, 0
	s_cmp_eq_u64 s[2:3], 0
	v_cvt_f16_f32_e32 v3, v3
	s_cselect_b64 s[0:1], -1, 0
	s_cmp_lg_u32 s2, 0
	s_cselect_b64 s[2:3], -1, 0
	v_cndmask_b32_e64 v0, 0, 1, s[2:3]
	s_mov_b64 s[10:11], 0
	v_cmp_ne_u32_e64 s[2:3], 1, v0
	s_mov_b32 s14, 0xffff0000
	s_branch .LBB12_43
.LBB12_42:                              ;   in Loop: Header=BB12_43 Depth=1
	global_atomic_cmpswap v0, v2, v[0:1], s[8:9] glc
	s_waitcnt vmcnt(0)
	v_cmp_eq_u32_e32 vcc, v1, v0
	s_or_b64 s[10:11], vcc, s[10:11]
	v_mov_b32_e32 v1, v0
	s_andn2_b64 exec, exec, s[10:11]
	s_cbranch_execz .LBB12_47
.LBB12_43:                              ; =>This Inner Loop Header: Depth=1
	s_mov_b64 vcc, s[0:1]
	s_waitcnt vmcnt(0)
	v_cndmask_b32_sdwa v0, v1, v1, vcc dst_sel:DWORD dst_unused:UNUSED_PAD src0_sel:WORD_1 src1_sel:DWORD
	v_add_f16_e32 v4, v3, v0
	s_and_b64 vcc, exec, s[2:3]
	s_mov_b64 s[12:13], -1
	s_cbranch_vccnz .LBB12_45
; %bb.44:                               ;   in Loop: Header=BB12_43 Depth=1
	v_and_b32_e32 v0, 0xffff, v1
	v_lshl_or_b32 v0, v4, 16, v0
	s_mov_b64 s[12:13], 0
.LBB12_45:                              ;   in Loop: Header=BB12_43 Depth=1
	s_andn2_b64 vcc, exec, s[12:13]
	s_cbranch_vccnz .LBB12_42
; %bb.46:                               ;   in Loop: Header=BB12_43 Depth=1
	v_and_or_b32 v0, v1, s14, v4
	s_branch .LBB12_42
.LBB12_47:
	s_or_b64 exec, exec, s[6:7]
	s_andn2_b64 s[22:23], s[22:23], exec
	s_or_b64 exec, exec, s[4:5]
	s_mov_b64 s[0:1], 0
	s_and_saveexec_b64 s[2:3], s[22:23]
	s_cbranch_execz .LBB12_3
.LBB12_48:
	s_mov_b64 s[0:1], exec
	s_trap 2
	s_or_b64 exec, exec, s[2:3]
	s_and_saveexec_b64 s[2:3], s[20:21]
	s_cbranch_execz .LBB12_4
.LBB12_49:
	s_or_b64 s[0:1], s[0:1], exec
	s_trap 2
	s_or_b64 exec, exec, s[2:3]
	s_and_saveexec_b64 s[2:3], s[0:1]
	s_cbranch_execz .LBB12_5
.LBB12_50:
	; divergent unreachable
	s_endpgm
	.section	.rodata,"a",@progbits
	.p2align	6, 0x0
	.amdhsa_kernel _ZN2at6native12_GLOBAL__N_125nll_loss2d_forward_kernelIN3c104HalfEflEEvPT_S6_PKS5_PKlS8_iiil
		.amdhsa_group_segment_fixed_size 8192
		.amdhsa_private_segment_fixed_size 0
		.amdhsa_kernarg_size 320
		.amdhsa_user_sgpr_count 6
		.amdhsa_user_sgpr_private_segment_buffer 1
		.amdhsa_user_sgpr_dispatch_ptr 0
		.amdhsa_user_sgpr_queue_ptr 0
		.amdhsa_user_sgpr_kernarg_segment_ptr 1
		.amdhsa_user_sgpr_dispatch_id 0
		.amdhsa_user_sgpr_flat_scratch_init 0
		.amdhsa_user_sgpr_private_segment_size 0
		.amdhsa_uses_dynamic_stack 0
		.amdhsa_system_sgpr_private_segment_wavefront_offset 0
		.amdhsa_system_sgpr_workgroup_id_x 1
		.amdhsa_system_sgpr_workgroup_id_y 0
		.amdhsa_system_sgpr_workgroup_id_z 0
		.amdhsa_system_sgpr_workgroup_info 0
		.amdhsa_system_vgpr_workitem_id 0
		.amdhsa_next_free_vgpr 29
		.amdhsa_next_free_sgpr 61
		.amdhsa_reserve_vcc 1
		.amdhsa_reserve_flat_scratch 0
		.amdhsa_float_round_mode_32 0
		.amdhsa_float_round_mode_16_64 0
		.amdhsa_float_denorm_mode_32 3
		.amdhsa_float_denorm_mode_16_64 3
		.amdhsa_dx10_clamp 1
		.amdhsa_ieee_mode 1
		.amdhsa_fp16_overflow 0
		.amdhsa_exception_fp_ieee_invalid_op 0
		.amdhsa_exception_fp_denorm_src 0
		.amdhsa_exception_fp_ieee_div_zero 0
		.amdhsa_exception_fp_ieee_overflow 0
		.amdhsa_exception_fp_ieee_underflow 0
		.amdhsa_exception_fp_ieee_inexact 0
		.amdhsa_exception_int_div_zero 0
	.end_amdhsa_kernel
	.section	.text._ZN2at6native12_GLOBAL__N_125nll_loss2d_forward_kernelIN3c104HalfEflEEvPT_S6_PKS5_PKlS8_iiil,"axG",@progbits,_ZN2at6native12_GLOBAL__N_125nll_loss2d_forward_kernelIN3c104HalfEflEEvPT_S6_PKS5_PKlS8_iiil,comdat
.Lfunc_end12:
	.size	_ZN2at6native12_GLOBAL__N_125nll_loss2d_forward_kernelIN3c104HalfEflEEvPT_S6_PKS5_PKlS8_iiil, .Lfunc_end12-_ZN2at6native12_GLOBAL__N_125nll_loss2d_forward_kernelIN3c104HalfEflEEvPT_S6_PKS5_PKlS8_iiil
                                        ; -- End function
	.set _ZN2at6native12_GLOBAL__N_125nll_loss2d_forward_kernelIN3c104HalfEflEEvPT_S6_PKS5_PKlS8_iiil.num_vgpr, 13
	.set _ZN2at6native12_GLOBAL__N_125nll_loss2d_forward_kernelIN3c104HalfEflEEvPT_S6_PKS5_PKlS8_iiil.num_agpr, 0
	.set _ZN2at6native12_GLOBAL__N_125nll_loss2d_forward_kernelIN3c104HalfEflEEvPT_S6_PKS5_PKlS8_iiil.numbered_sgpr, 42
	.set _ZN2at6native12_GLOBAL__N_125nll_loss2d_forward_kernelIN3c104HalfEflEEvPT_S6_PKS5_PKlS8_iiil.num_named_barrier, 0
	.set _ZN2at6native12_GLOBAL__N_125nll_loss2d_forward_kernelIN3c104HalfEflEEvPT_S6_PKS5_PKlS8_iiil.private_seg_size, 0
	.set _ZN2at6native12_GLOBAL__N_125nll_loss2d_forward_kernelIN3c104HalfEflEEvPT_S6_PKS5_PKlS8_iiil.uses_vcc, 1
	.set _ZN2at6native12_GLOBAL__N_125nll_loss2d_forward_kernelIN3c104HalfEflEEvPT_S6_PKS5_PKlS8_iiil.uses_flat_scratch, 0
	.set _ZN2at6native12_GLOBAL__N_125nll_loss2d_forward_kernelIN3c104HalfEflEEvPT_S6_PKS5_PKlS8_iiil.has_dyn_sized_stack, 0
	.set _ZN2at6native12_GLOBAL__N_125nll_loss2d_forward_kernelIN3c104HalfEflEEvPT_S6_PKS5_PKlS8_iiil.has_recursion, 0
	.set _ZN2at6native12_GLOBAL__N_125nll_loss2d_forward_kernelIN3c104HalfEflEEvPT_S6_PKS5_PKlS8_iiil.has_indirect_call, 0
	.section	.AMDGPU.csdata,"",@progbits
; Kernel info:
; codeLenInByte = 1984
; TotalNumSgprs: 46
; NumVgprs: 13
; ScratchSize: 0
; MemoryBound: 0
; FloatMode: 240
; IeeeMode: 1
; LDSByteSize: 8192 bytes/workgroup (compile time only)
; SGPRBlocks: 8
; VGPRBlocks: 7
; NumSGPRsForWavesPerEU: 65
; NumVGPRsForWavesPerEU: 29
; Occupancy: 8
; WaveLimiterHint : 1
; COMPUTE_PGM_RSRC2:SCRATCH_EN: 0
; COMPUTE_PGM_RSRC2:USER_SGPR: 6
; COMPUTE_PGM_RSRC2:TRAP_HANDLER: 0
; COMPUTE_PGM_RSRC2:TGID_X_EN: 1
; COMPUTE_PGM_RSRC2:TGID_Y_EN: 0
; COMPUTE_PGM_RSRC2:TGID_Z_EN: 0
; COMPUTE_PGM_RSRC2:TIDIG_COMP_CNT: 0
	.section	.text._ZN2at6native12_GLOBAL__N_125nll_loss2d_forward_kernelIN3c108BFloat16EfiEEvPT_S6_PKS5_PKlS8_iiil,"axG",@progbits,_ZN2at6native12_GLOBAL__N_125nll_loss2d_forward_kernelIN3c108BFloat16EfiEEvPT_S6_PKS5_PKlS8_iiil,comdat
	.globl	_ZN2at6native12_GLOBAL__N_125nll_loss2d_forward_kernelIN3c108BFloat16EfiEEvPT_S6_PKS5_PKlS8_iiil ; -- Begin function _ZN2at6native12_GLOBAL__N_125nll_loss2d_forward_kernelIN3c108BFloat16EfiEEvPT_S6_PKS5_PKlS8_iiil
	.p2align	8
	.type	_ZN2at6native12_GLOBAL__N_125nll_loss2d_forward_kernelIN3c108BFloat16EfiEEvPT_S6_PKS5_PKlS8_iiil,@function
_ZN2at6native12_GLOBAL__N_125nll_loss2d_forward_kernelIN3c108BFloat16EfiEEvPT_S6_PKS5_PKlS8_iiil: ; @_ZN2at6native12_GLOBAL__N_125nll_loss2d_forward_kernelIN3c108BFloat16EfiEEvPT_S6_PKS5_PKlS8_iiil
; %bb.0:
	s_load_dwordx4 s[16:19], s[4:5], 0x28
	s_load_dwordx2 s[24:25], s[4:5], 0x20
	s_load_dwordx8 s[8:15], s[4:5], 0x0
	s_load_dword s2, s[4:5], 0x4c
	s_mov_b64 s[0:1], -1
	s_mov_b64 s[22:23], 0
	s_waitcnt lgkmcnt(0)
	v_cvt_f32_u32_e32 v1, s18
	s_sub_i32 s3, 0, s18
	s_mov_b64 s[20:21], 0
	v_mov_b32_e32 v3, 0
	v_rcp_iflag_f32_e32 v2, v1
	v_mov_b32_e32 v1, 0
	v_mul_f32_e32 v2, 0x4f7ffffe, v2
	v_cvt_u32_f32_e32 v2, v2
	v_readfirstlane_b32 s7, v2
	s_mul_i32 s3, s3, s7
	s_mul_hi_u32 s3, s7, s3
	s_add_i32 s7, s7, s3
	s_mul_hi_u32 s3, s6, s7
	s_mul_i32 s7, s3, s18
	s_sub_i32 s7, s6, s7
	s_add_i32 s19, s3, 1
	s_sub_i32 s26, s7, s18
	s_cmp_ge_u32 s7, s18
	s_cselect_b32 s3, s19, s3
	s_cselect_b32 s7, s26, s7
	s_add_i32 s19, s3, 1
	s_cmp_ge_u32 s7, s18
	s_cselect_b32 s3, s19, s3
	s_and_b32 s33, s2, 0xffff
	s_mul_i32 s2, s3, s18
	s_sub_i32 s2, s6, s2
	s_mul_i32 s2, s2, s33
	v_add_u32_e32 v7, s2, v0
	v_cmp_gt_i32_e32 vcc, s17, v7
	s_and_saveexec_b64 s[6:7], vcc
	s_cbranch_execnz .LBB13_6
; %bb.1:
	s_or_b64 exec, exec, s[6:7]
	s_and_saveexec_b64 s[2:3], s[0:1]
	s_xor_b64 s[4:5], exec, s[2:3]
	s_cbranch_execnz .LBB13_22
.LBB13_2:
	s_or_b64 exec, exec, s[4:5]
	s_mov_b64 s[0:1], 0
	s_and_saveexec_b64 s[2:3], s[22:23]
	s_cbranch_execnz .LBB13_40
.LBB13_3:
	s_or_b64 exec, exec, s[2:3]
	s_and_saveexec_b64 s[2:3], s[20:21]
	s_cbranch_execnz .LBB13_41
.LBB13_4:
	s_or_b64 exec, exec, s[2:3]
	s_and_saveexec_b64 s[2:3], s[0:1]
	s_cbranch_execnz .LBB13_42
.LBB13_5:
	s_endpgm
.LBB13_6:
	s_mul_i32 s3, s3, s17
	s_cmp_lg_u64 s[24:25], 0
	s_cselect_b64 s[0:1], -1, 0
	s_add_i32 s2, s2, s3
	v_add_u32_e32 v1, s2, v0
	v_ashrrev_i32_e32 v2, 31, v1
	s_load_dwordx2 s[4:5], s[4:5], 0x38
	v_lshlrev_b64 v[1:2], 3, v[1:2]
	s_mul_i32 s20, s18, s33
	v_mov_b32_e32 v3, s15
	v_add_co_u32_e32 v1, vcc, s14, v1
	v_addc_co_u32_e32 v2, vcc, v3, v2, vcc
	s_ashr_i32 s21, s20, 31
	v_cndmask_b32_e64 v3, 0, 1, s[0:1]
	s_mul_i32 s38, s3, s16
	s_mov_b64 s[18:19], 0
	s_lshl_b64 s[26:27], s[20:21], 3
	v_mov_b32_e32 v4, 0
	v_cmp_ne_u32_e64 s[0:1], 1, v3
	s_movk_i32 s21, 0x7fff
	v_mov_b32_e32 v10, 0x7fc00000
	v_mov_b32_e32 v8, 0
	;; [unrolled: 1-line block ×3, first 2 shown]
                                        ; implicit-def: $sgpr22_sgpr23
                                        ; implicit-def: $sgpr14_sgpr15
	s_branch .LBB13_8
.LBB13_7:                               ;   in Loop: Header=BB13_8 Depth=1
	s_or_b64 exec, exec, s[36:37]
	s_xor_b64 s[30:31], s[30:31], -1
	s_xor_b64 s[2:3], s[2:3], -1
	s_and_b64 s[28:29], exec, s[28:29]
	s_or_b64 s[18:19], s[28:29], s[18:19]
	s_andn2_b64 s[14:15], s[14:15], exec
	s_and_b64 s[28:29], s[30:31], exec
	s_andn2_b64 s[22:23], s[22:23], exec
	s_and_b64 s[2:3], s[2:3], exec
	s_or_b64 s[14:15], s[14:15], s[28:29]
	s_or_b64 s[22:23], s[22:23], s[2:3]
	s_andn2_b64 exec, exec, s[18:19]
	s_cbranch_execz .LBB13_19
.LBB13_8:                               ; =>This Inner Loop Header: Depth=1
	global_load_dwordx2 v[5:6], v[1:2], off
	s_mov_b64 s[34:35], -1
                                        ; implicit-def: $sgpr2_sgpr3
                                        ; implicit-def: $sgpr30_sgpr31
	s_waitcnt vmcnt(0)
	v_ashrrev_i32_e32 v6, 31, v5
	s_waitcnt lgkmcnt(0)
	v_cmp_ne_u64_e32 vcc, s[4:5], v[5:6]
	s_and_saveexec_b64 s[28:29], vcc
	s_cbranch_execz .LBB13_17
; %bb.9:                                ;   in Loop: Header=BB13_8 Depth=1
	v_cmp_lt_i32_e32 vcc, -1, v5
	v_cmp_gt_i32_e64 s[2:3], s16, v5
	s_and_b64 s[40:41], vcc, s[2:3]
	s_mov_b64 s[2:3], -1
	s_mov_b64 s[36:37], 0
	s_mov_b64 s[30:31], 0
	s_and_saveexec_b64 s[34:35], s[40:41]
	s_cbranch_execz .LBB13_16
; %bb.10:                               ;   in Loop: Header=BB13_8 Depth=1
	s_and_b64 vcc, exec, s[0:1]
	s_cbranch_vccnz .LBB13_12
; %bb.11:                               ;   in Loop: Header=BB13_8 Depth=1
	v_lshlrev_b64 v[11:12], 1, v[5:6]
	v_mov_b32_e32 v3, s25
	v_add_co_u32_e32 v11, vcc, s24, v11
	v_addc_co_u32_e32 v12, vcc, v3, v12, vcc
	global_load_ushort v3, v[11:12], off
	s_waitcnt vmcnt(0)
	v_lshlrev_b32_e32 v6, 16, v3
	s_branch .LBB13_13
.LBB13_12:                              ;   in Loop: Header=BB13_8 Depth=1
	v_mov_b32_e32 v6, 1.0
.LBB13_13:                              ;   in Loop: Header=BB13_8 Depth=1
	v_mul_lo_u32 v3, s17, v5
	v_add3_u32 v3, s38, v7, v3
	v_cmp_lt_i32_e32 vcc, -1, v3
	s_and_saveexec_b64 s[2:3], vcc
	s_cbranch_execz .LBB13_15
; %bb.14:                               ;   in Loop: Header=BB13_8 Depth=1
	v_lshlrev_b64 v[11:12], 1, v[3:4]
	v_mov_b32_e32 v3, s13
	v_add_co_u32_e32 v11, vcc, s12, v11
	v_addc_co_u32_e32 v12, vcc, v3, v12, vcc
	global_load_ushort v3, v[11:12], off
	s_mov_b64 s[36:37], exec
	v_add_f32_e32 v9, v9, v6
	s_waitcnt vmcnt(0)
	v_lshlrev_b32_e32 v3, 16, v3
	v_mul_f32_e32 v3, v6, v3
	v_bfe_u32 v5, v3, 16, 1
	v_add3_u32 v5, v3, v5, s21
	v_and_b32_e32 v5, 0xffff0000, v5
	v_cmp_o_f32_e32 vcc, v3, v3
	v_cndmask_b32_e32 v3, v10, v5, vcc
	v_sub_f32_e32 v8, v8, v3
.LBB13_15:                              ;   in Loop: Header=BB13_8 Depth=1
	s_or_b64 exec, exec, s[2:3]
	s_mov_b64 s[30:31], exec
	s_xor_b64 s[2:3], exec, -1
	s_and_b64 s[36:37], s[36:37], exec
.LBB13_16:                              ;   in Loop: Header=BB13_8 Depth=1
	s_or_b64 exec, exec, s[34:35]
	s_orn2_b64 s[34:35], s[36:37], exec
.LBB13_17:                              ;   in Loop: Header=BB13_8 Depth=1
	s_or_b64 exec, exec, s[28:29]
	s_mov_b64 s[28:29], -1
	s_and_saveexec_b64 s[36:37], s[34:35]
	s_cbranch_execz .LBB13_7
; %bb.18:                               ;   in Loop: Header=BB13_8 Depth=1
	v_mov_b32_e32 v3, s27
	v_add_co_u32_e32 v1, vcc, s26, v1
	v_add_u32_e32 v7, s20, v7
	v_addc_co_u32_e32 v2, vcc, v2, v3, vcc
	v_cmp_le_i32_e32 vcc, s17, v7
	s_andn2_b64 s[30:31], s[30:31], exec
	s_andn2_b64 s[2:3], s[2:3], exec
	s_orn2_b64 s[28:29], vcc, exec
	s_branch .LBB13_7
.LBB13_19:
	s_or_b64 exec, exec, s[18:19]
	s_mov_b64 s[0:1], 0
	s_mov_b64 s[4:5], -1
	v_mov_b32_e32 v1, 0
	s_mov_b64 s[2:3], 0
	v_mov_b32_e32 v3, 0
	s_and_saveexec_b64 s[12:13], s[22:23]
	s_xor_b64 s[12:13], exec, s[12:13]
; %bb.20:
	s_mov_b64 s[2:3], exec
	s_xor_b64 s[4:5], exec, -1
	s_and_b64 s[0:1], s[14:15], exec
	v_mov_b32_e32 v1, v8
	v_mov_b32_e32 v3, v9
; %bb.21:
	s_or_b64 exec, exec, s[12:13]
	s_and_b64 s[20:21], s[4:5], exec
	s_and_b64 s[22:23], s[2:3], exec
	s_orn2_b64 s[0:1], s[0:1], exec
	s_or_b64 exec, exec, s[6:7]
	s_and_saveexec_b64 s[2:3], s[0:1]
	s_xor_b64 s[4:5], exec, s[2:3]
	s_cbranch_execz .LBB13_2
.LBB13_22:
	v_mbcnt_lo_u32_b32 v2, -1, 0
	v_mbcnt_hi_u32_b32 v7, -1, v2
	v_mov_b32_e32 v2, 0x80
	v_lshl_or_b32 v2, v7, 2, v2
	ds_bpermute_b32 v4, v2, v3
	v_and_b32_e32 v8, 63, v7
	v_cmp_gt_u32_e32 vcc, 48, v8
	v_cndmask_b32_e64 v5, 0, 16, vcc
	v_cmp_gt_u32_e32 vcc, 56, v8
	s_waitcnt lgkmcnt(0)
	v_add_f32_e32 v6, v3, v4
	v_add_lshl_u32 v3, v5, v7, 2
	ds_bpermute_b32 v5, v3, v6
	v_cndmask_b32_e64 v4, 0, 8, vcc
	v_add_lshl_u32 v4, v4, v7, 2
	v_cmp_gt_u32_e32 vcc, 60, v8
	v_and_b32_e32 v10, 63, v0
	s_waitcnt lgkmcnt(0)
	v_add_f32_e32 v6, v6, v5
	ds_bpermute_b32 v9, v4, v6
	v_cndmask_b32_e64 v5, 0, 4, vcc
	v_add_lshl_u32 v5, v5, v7, 2
	v_cmp_gt_u32_e32 vcc, 62, v8
	s_waitcnt lgkmcnt(0)
	v_add_f32_e32 v9, v6, v9
	ds_bpermute_b32 v11, v5, v9
	v_cndmask_b32_e64 v6, 0, 2, vcc
	v_add_lshl_u32 v6, v6, v7, 2
	v_cmp_ne_u32_e32 vcc, 63, v8
	v_addc_co_u32_e32 v7, vcc, 0, v7, vcc
	s_waitcnt lgkmcnt(0)
	v_add_f32_e32 v9, v9, v11
	ds_bpermute_b32 v11, v6, v9
	v_lshlrev_b32_e32 v7, 2, v7
	v_cmp_eq_u32_e32 vcc, 0, v10
	v_lshrrev_b32_e32 v8, 4, v0
	s_waitcnt lgkmcnt(0)
	s_barrier
	v_add_f32_e32 v9, v9, v11
	ds_bpermute_b32 v11, v7, v9
	s_waitcnt lgkmcnt(0)
	s_and_saveexec_b64 s[0:1], vcc
; %bb.23:
	v_add_f32_e32 v9, v9, v11
	ds_write_b32 v8, v9 offset:4096
; %bb.24:
	s_or_b64 exec, exec, s[0:1]
	s_lshr_b32 s0, s33, 6
	v_cmp_gt_u32_e64 s[0:1], s0, v0
	v_mov_b32_e32 v9, 0
	v_lshlrev_b32_e32 v10, 2, v10
	s_waitcnt lgkmcnt(0)
	s_barrier
	s_and_saveexec_b64 s[2:3], s[0:1]
; %bb.25:
	ds_read_b32 v9, v10 offset:4096
; %bb.26:
	s_or_b64 exec, exec, s[2:3]
	v_cmp_gt_u32_e64 s[2:3], 64, v0
	s_and_saveexec_b64 s[6:7], s[2:3]
	s_cbranch_execz .LBB13_28
; %bb.27:
	s_waitcnt lgkmcnt(0)
	ds_bpermute_b32 v11, v2, v9
	s_waitcnt lgkmcnt(0)
	v_add_f32_e32 v9, v9, v11
	ds_bpermute_b32 v11, v3, v9
	s_waitcnt lgkmcnt(0)
	v_add_f32_e32 v9, v9, v11
	;; [unrolled: 3-line block ×6, first 2 shown]
.LBB13_28:
	s_or_b64 exec, exec, s[6:7]
	ds_bpermute_b32 v11, v2, v1
	s_waitcnt lgkmcnt(0)
	s_barrier
	v_add_f32_e32 v1, v1, v11
	ds_bpermute_b32 v11, v3, v1
	s_waitcnt lgkmcnt(0)
	v_add_f32_e32 v1, v1, v11
	ds_bpermute_b32 v11, v4, v1
	s_waitcnt lgkmcnt(0)
	;; [unrolled: 3-line block ×4, first 2 shown]
	v_add_f32_e32 v1, v1, v11
	ds_bpermute_b32 v11, v7, v1
	s_and_saveexec_b64 s[6:7], vcc
	s_cbranch_execz .LBB13_30
; %bb.29:
	s_waitcnt lgkmcnt(0)
	v_add_f32_e32 v1, v1, v11
	ds_write_b32 v8, v1
.LBB13_30:
	s_or_b64 exec, exec, s[6:7]
	v_mov_b32_e32 v8, 0
	s_waitcnt lgkmcnt(0)
	s_barrier
	s_and_saveexec_b64 s[6:7], s[0:1]
; %bb.31:
	ds_read_b32 v8, v10
; %bb.32:
	s_or_b64 exec, exec, s[6:7]
	s_and_saveexec_b64 s[0:1], s[2:3]
	s_cbranch_execz .LBB13_34
; %bb.33:
	s_waitcnt lgkmcnt(0)
	ds_bpermute_b32 v1, v2, v8
	s_waitcnt lgkmcnt(0)
	v_add_f32_e32 v1, v8, v1
	ds_bpermute_b32 v2, v3, v1
	s_waitcnt lgkmcnt(0)
	v_add_f32_e32 v1, v1, v2
	;; [unrolled: 3-line block ×6, first 2 shown]
.LBB13_34:
	s_or_b64 exec, exec, s[0:1]
	s_mov_b32 s1, 0
	v_cmp_eq_u32_e32 vcc, 0, v0
	s_and_saveexec_b64 s[2:3], vcc
	s_cbranch_execz .LBB13_39
; %bb.35:
	s_and_b32 s0, s10, 2
	s_sub_u32 s14, 0, s0
	s_subb_u32 s15, 0, 0
	s_add_u32 s10, s10, s14
	s_addc_u32 s11, s11, s15
	s_load_dword s14, s[10:11], 0x0
	v_bfe_u32 v0, v9, 16, 1
	s_movk_i32 s12, 0x7fff
	v_add3_u32 v0, v9, v0, s12
	v_and_b32_e32 v0, 0xffff0000, v0
	s_cmp_eq_u64 s[0:1], 0
	v_mov_b32_e32 v1, 0x7fc00000
	v_cmp_o_f32_e32 vcc, v9, v9
	s_mov_b32 s13, 0xffff0000
	s_mov_b64 s[6:7], 0
	s_cselect_b64 s[0:1], -1, 0
	v_cndmask_b32_e32 v2, v1, v0, vcc
	s_waitcnt lgkmcnt(0)
	v_mov_b32_e32 v1, s14
	v_mov_b32_e32 v3, 0x7fc0
	;; [unrolled: 1-line block ×3, first 2 shown]
.LBB13_36:                              ; =>This Inner Loop Header: Depth=1
	s_mov_b64 vcc, s[0:1]
	v_and_b32_e32 v0, 0xffff, v1
	v_cndmask_b32_sdwa v5, v1, v0, vcc dst_sel:WORD_1 dst_unused:UNUSED_PAD src0_sel:WORD_1 src1_sel:DWORD
	v_add_f32_e32 v5, v2, v5
	v_bfe_u32 v6, v5, 16, 1
	v_cmp_o_f32_e32 vcc, v5, v5
	v_add3_u32 v5, v5, v6, s12
	v_cndmask_b32_sdwa v5, v3, v5, vcc dst_sel:DWORD dst_unused:UNUSED_PAD src0_sel:DWORD src1_sel:WORD_1
	v_lshl_or_b32 v0, v5, 16, v0
	v_and_or_b32 v5, v1, s13, v5
	v_cndmask_b32_e64 v0, v0, v5, s[0:1]
	global_atomic_cmpswap v0, v4, v[0:1], s[10:11] glc
	s_waitcnt vmcnt(0)
	v_cmp_eq_u32_e32 vcc, v1, v0
	s_or_b64 s[6:7], vcc, s[6:7]
	v_mov_b32_e32 v1, v0
	s_andn2_b64 exec, exec, s[6:7]
	s_cbranch_execnz .LBB13_36
; %bb.37:
	s_or_b64 exec, exec, s[6:7]
	s_and_b32 s0, s8, 2
	s_sub_u32 s1, 0, s0
	s_subb_u32 s7, 0, 0
	s_add_u32 s6, s8, s1
	s_addc_u32 s7, s9, s7
	v_mov_b32_e32 v2, 0
	global_load_dword v1, v2, s[6:7]
	v_bfe_u32 v0, v8, 16, 1
	s_movk_i32 s10, 0x7fff
	v_add3_u32 v0, v8, v0, s10
	s_mov_b32 s1, 0
	v_and_b32_e32 v0, 0xffff0000, v0
	s_cmp_eq_u64 s[0:1], 0
	v_mov_b32_e32 v3, 0x7fc00000
	v_cmp_o_f32_e32 vcc, v8, v8
	s_mov_b32 s11, 0xffff0000
	s_mov_b64 s[8:9], 0
	s_cselect_b64 s[0:1], -1, 0
	v_cndmask_b32_e32 v3, v3, v0, vcc
	v_mov_b32_e32 v4, 0x7fc0
.LBB13_38:                              ; =>This Inner Loop Header: Depth=1
	s_mov_b64 vcc, s[0:1]
	s_waitcnt vmcnt(0)
	v_and_b32_e32 v0, 0xffff, v1
	v_cndmask_b32_sdwa v5, v1, v0, vcc dst_sel:WORD_1 dst_unused:UNUSED_PAD src0_sel:WORD_1 src1_sel:DWORD
	v_add_f32_e32 v5, v3, v5
	v_bfe_u32 v6, v5, 16, 1
	v_cmp_o_f32_e32 vcc, v5, v5
	v_add3_u32 v5, v5, v6, s10
	v_cndmask_b32_sdwa v5, v4, v5, vcc dst_sel:DWORD dst_unused:UNUSED_PAD src0_sel:DWORD src1_sel:WORD_1
	v_lshl_or_b32 v0, v5, 16, v0
	v_and_or_b32 v5, v1, s11, v5
	v_cndmask_b32_e64 v0, v0, v5, s[0:1]
	global_atomic_cmpswap v0, v2, v[0:1], s[6:7] glc
	s_waitcnt vmcnt(0)
	v_cmp_eq_u32_e32 vcc, v1, v0
	s_or_b64 s[8:9], vcc, s[8:9]
	v_mov_b32_e32 v1, v0
	s_andn2_b64 exec, exec, s[8:9]
	s_cbranch_execnz .LBB13_38
.LBB13_39:
	s_or_b64 exec, exec, s[2:3]
	s_andn2_b64 s[22:23], s[22:23], exec
	s_or_b64 exec, exec, s[4:5]
	s_mov_b64 s[0:1], 0
	s_and_saveexec_b64 s[2:3], s[22:23]
	s_cbranch_execz .LBB13_3
.LBB13_40:
	s_mov_b64 s[0:1], exec
	s_trap 2
	s_or_b64 exec, exec, s[2:3]
	s_and_saveexec_b64 s[2:3], s[20:21]
	s_cbranch_execz .LBB13_4
.LBB13_41:
	s_or_b64 s[0:1], s[0:1], exec
	s_trap 2
	s_or_b64 exec, exec, s[2:3]
	s_and_saveexec_b64 s[2:3], s[0:1]
	s_cbranch_execz .LBB13_5
.LBB13_42:
	; divergent unreachable
	s_endpgm
	.section	.rodata,"a",@progbits
	.p2align	6, 0x0
	.amdhsa_kernel _ZN2at6native12_GLOBAL__N_125nll_loss2d_forward_kernelIN3c108BFloat16EfiEEvPT_S6_PKS5_PKlS8_iiil
		.amdhsa_group_segment_fixed_size 8192
		.amdhsa_private_segment_fixed_size 0
		.amdhsa_kernarg_size 320
		.amdhsa_user_sgpr_count 6
		.amdhsa_user_sgpr_private_segment_buffer 1
		.amdhsa_user_sgpr_dispatch_ptr 0
		.amdhsa_user_sgpr_queue_ptr 0
		.amdhsa_user_sgpr_kernarg_segment_ptr 1
		.amdhsa_user_sgpr_dispatch_id 0
		.amdhsa_user_sgpr_flat_scratch_init 0
		.amdhsa_user_sgpr_private_segment_size 0
		.amdhsa_uses_dynamic_stack 0
		.amdhsa_system_sgpr_private_segment_wavefront_offset 0
		.amdhsa_system_sgpr_workgroup_id_x 1
		.amdhsa_system_sgpr_workgroup_id_y 0
		.amdhsa_system_sgpr_workgroup_id_z 0
		.amdhsa_system_sgpr_workgroup_info 0
		.amdhsa_system_vgpr_workitem_id 0
		.amdhsa_next_free_vgpr 29
		.amdhsa_next_free_sgpr 61
		.amdhsa_reserve_vcc 1
		.amdhsa_reserve_flat_scratch 0
		.amdhsa_float_round_mode_32 0
		.amdhsa_float_round_mode_16_64 0
		.amdhsa_float_denorm_mode_32 3
		.amdhsa_float_denorm_mode_16_64 3
		.amdhsa_dx10_clamp 1
		.amdhsa_ieee_mode 1
		.amdhsa_fp16_overflow 0
		.amdhsa_exception_fp_ieee_invalid_op 0
		.amdhsa_exception_fp_denorm_src 0
		.amdhsa_exception_fp_ieee_div_zero 0
		.amdhsa_exception_fp_ieee_overflow 0
		.amdhsa_exception_fp_ieee_underflow 0
		.amdhsa_exception_fp_ieee_inexact 0
		.amdhsa_exception_int_div_zero 0
	.end_amdhsa_kernel
	.section	.text._ZN2at6native12_GLOBAL__N_125nll_loss2d_forward_kernelIN3c108BFloat16EfiEEvPT_S6_PKS5_PKlS8_iiil,"axG",@progbits,_ZN2at6native12_GLOBAL__N_125nll_loss2d_forward_kernelIN3c108BFloat16EfiEEvPT_S6_PKS5_PKlS8_iiil,comdat
.Lfunc_end13:
	.size	_ZN2at6native12_GLOBAL__N_125nll_loss2d_forward_kernelIN3c108BFloat16EfiEEvPT_S6_PKS5_PKlS8_iiil, .Lfunc_end13-_ZN2at6native12_GLOBAL__N_125nll_loss2d_forward_kernelIN3c108BFloat16EfiEEvPT_S6_PKS5_PKlS8_iiil
                                        ; -- End function
	.set _ZN2at6native12_GLOBAL__N_125nll_loss2d_forward_kernelIN3c108BFloat16EfiEEvPT_S6_PKS5_PKlS8_iiil.num_vgpr, 13
	.set _ZN2at6native12_GLOBAL__N_125nll_loss2d_forward_kernelIN3c108BFloat16EfiEEvPT_S6_PKS5_PKlS8_iiil.num_agpr, 0
	.set _ZN2at6native12_GLOBAL__N_125nll_loss2d_forward_kernelIN3c108BFloat16EfiEEvPT_S6_PKS5_PKlS8_iiil.numbered_sgpr, 42
	.set _ZN2at6native12_GLOBAL__N_125nll_loss2d_forward_kernelIN3c108BFloat16EfiEEvPT_S6_PKS5_PKlS8_iiil.num_named_barrier, 0
	.set _ZN2at6native12_GLOBAL__N_125nll_loss2d_forward_kernelIN3c108BFloat16EfiEEvPT_S6_PKS5_PKlS8_iiil.private_seg_size, 0
	.set _ZN2at6native12_GLOBAL__N_125nll_loss2d_forward_kernelIN3c108BFloat16EfiEEvPT_S6_PKS5_PKlS8_iiil.uses_vcc, 1
	.set _ZN2at6native12_GLOBAL__N_125nll_loss2d_forward_kernelIN3c108BFloat16EfiEEvPT_S6_PKS5_PKlS8_iiil.uses_flat_scratch, 0
	.set _ZN2at6native12_GLOBAL__N_125nll_loss2d_forward_kernelIN3c108BFloat16EfiEEvPT_S6_PKS5_PKlS8_iiil.has_dyn_sized_stack, 0
	.set _ZN2at6native12_GLOBAL__N_125nll_loss2d_forward_kernelIN3c108BFloat16EfiEEvPT_S6_PKS5_PKlS8_iiil.has_recursion, 0
	.set _ZN2at6native12_GLOBAL__N_125nll_loss2d_forward_kernelIN3c108BFloat16EfiEEvPT_S6_PKS5_PKlS8_iiil.has_indirect_call, 0
	.section	.AMDGPU.csdata,"",@progbits
; Kernel info:
; codeLenInByte = 2008
; TotalNumSgprs: 46
; NumVgprs: 13
; ScratchSize: 0
; MemoryBound: 0
; FloatMode: 240
; IeeeMode: 1
; LDSByteSize: 8192 bytes/workgroup (compile time only)
; SGPRBlocks: 8
; VGPRBlocks: 7
; NumSGPRsForWavesPerEU: 65
; NumVGPRsForWavesPerEU: 29
; Occupancy: 8
; WaveLimiterHint : 1
; COMPUTE_PGM_RSRC2:SCRATCH_EN: 0
; COMPUTE_PGM_RSRC2:USER_SGPR: 6
; COMPUTE_PGM_RSRC2:TRAP_HANDLER: 0
; COMPUTE_PGM_RSRC2:TGID_X_EN: 1
; COMPUTE_PGM_RSRC2:TGID_Y_EN: 0
; COMPUTE_PGM_RSRC2:TGID_Z_EN: 0
; COMPUTE_PGM_RSRC2:TIDIG_COMP_CNT: 0
	.section	.text._ZN2at6native12_GLOBAL__N_138nll_loss2d_forward_size_average_kernelIN3c108BFloat16EEEvPT_PKS5_,"axG",@progbits,_ZN2at6native12_GLOBAL__N_138nll_loss2d_forward_size_average_kernelIN3c108BFloat16EEEvPT_PKS5_,comdat
	.globl	_ZN2at6native12_GLOBAL__N_138nll_loss2d_forward_size_average_kernelIN3c108BFloat16EEEvPT_PKS5_ ; -- Begin function _ZN2at6native12_GLOBAL__N_138nll_loss2d_forward_size_average_kernelIN3c108BFloat16EEEvPT_PKS5_
	.p2align	8
	.type	_ZN2at6native12_GLOBAL__N_138nll_loss2d_forward_size_average_kernelIN3c108BFloat16EEEvPT_PKS5_,@function
_ZN2at6native12_GLOBAL__N_138nll_loss2d_forward_size_average_kernelIN3c108BFloat16EEEvPT_PKS5_: ; @_ZN2at6native12_GLOBAL__N_138nll_loss2d_forward_size_average_kernelIN3c108BFloat16EEEvPT_PKS5_
; %bb.0:
	s_load_dwordx4 s[0:3], s[4:5], 0x0
	v_mov_b32_e32 v0, 0
	s_waitcnt lgkmcnt(0)
	global_load_ushort v1, v0, s[0:1]
	global_load_ushort v2, v0, s[2:3]
	s_waitcnt vmcnt(1)
	v_lshlrev_b32_e32 v1, 16, v1
	s_waitcnt vmcnt(0)
	v_lshlrev_b32_e32 v2, 16, v2
	v_div_scale_f32 v3, s[2:3], v2, v2, v1
	v_div_scale_f32 v4, vcc, v1, v2, v1
	v_rcp_f32_e32 v5, v3
	v_fma_f32 v6, -v3, v5, 1.0
	v_fmac_f32_e32 v5, v6, v5
	v_mul_f32_e32 v6, v4, v5
	v_fma_f32 v7, -v3, v6, v4
	v_fmac_f32_e32 v6, v7, v5
	v_fma_f32 v3, -v3, v6, v4
	v_div_fmas_f32 v3, v3, v5, v6
	v_mov_b32_e32 v4, 0x7fc0
	v_div_fixup_f32 v1, v3, v2, v1
	v_bfe_u32 v2, v1, 16, 1
	v_cmp_o_f32_e32 vcc, v1, v1
	v_add_u32_e32 v1, v1, v2
	v_add_u32_e32 v1, 0x7fff, v1
	v_cndmask_b32_sdwa v1, v4, v1, vcc dst_sel:DWORD dst_unused:UNUSED_PAD src0_sel:DWORD src1_sel:WORD_1
	global_store_short v0, v1, s[0:1]
	s_endpgm
	.section	.rodata,"a",@progbits
	.p2align	6, 0x0
	.amdhsa_kernel _ZN2at6native12_GLOBAL__N_138nll_loss2d_forward_size_average_kernelIN3c108BFloat16EEEvPT_PKS5_
		.amdhsa_group_segment_fixed_size 0
		.amdhsa_private_segment_fixed_size 0
		.amdhsa_kernarg_size 16
		.amdhsa_user_sgpr_count 6
		.amdhsa_user_sgpr_private_segment_buffer 1
		.amdhsa_user_sgpr_dispatch_ptr 0
		.amdhsa_user_sgpr_queue_ptr 0
		.amdhsa_user_sgpr_kernarg_segment_ptr 1
		.amdhsa_user_sgpr_dispatch_id 0
		.amdhsa_user_sgpr_flat_scratch_init 0
		.amdhsa_user_sgpr_private_segment_size 0
		.amdhsa_uses_dynamic_stack 0
		.amdhsa_system_sgpr_private_segment_wavefront_offset 0
		.amdhsa_system_sgpr_workgroup_id_x 1
		.amdhsa_system_sgpr_workgroup_id_y 0
		.amdhsa_system_sgpr_workgroup_id_z 0
		.amdhsa_system_sgpr_workgroup_info 0
		.amdhsa_system_vgpr_workitem_id 0
		.amdhsa_next_free_vgpr 8
		.amdhsa_next_free_sgpr 6
		.amdhsa_reserve_vcc 1
		.amdhsa_reserve_flat_scratch 0
		.amdhsa_float_round_mode_32 0
		.amdhsa_float_round_mode_16_64 0
		.amdhsa_float_denorm_mode_32 3
		.amdhsa_float_denorm_mode_16_64 3
		.amdhsa_dx10_clamp 1
		.amdhsa_ieee_mode 1
		.amdhsa_fp16_overflow 0
		.amdhsa_exception_fp_ieee_invalid_op 0
		.amdhsa_exception_fp_denorm_src 0
		.amdhsa_exception_fp_ieee_div_zero 0
		.amdhsa_exception_fp_ieee_overflow 0
		.amdhsa_exception_fp_ieee_underflow 0
		.amdhsa_exception_fp_ieee_inexact 0
		.amdhsa_exception_int_div_zero 0
	.end_amdhsa_kernel
	.section	.text._ZN2at6native12_GLOBAL__N_138nll_loss2d_forward_size_average_kernelIN3c108BFloat16EEEvPT_PKS5_,"axG",@progbits,_ZN2at6native12_GLOBAL__N_138nll_loss2d_forward_size_average_kernelIN3c108BFloat16EEEvPT_PKS5_,comdat
.Lfunc_end14:
	.size	_ZN2at6native12_GLOBAL__N_138nll_loss2d_forward_size_average_kernelIN3c108BFloat16EEEvPT_PKS5_, .Lfunc_end14-_ZN2at6native12_GLOBAL__N_138nll_loss2d_forward_size_average_kernelIN3c108BFloat16EEEvPT_PKS5_
                                        ; -- End function
	.set _ZN2at6native12_GLOBAL__N_138nll_loss2d_forward_size_average_kernelIN3c108BFloat16EEEvPT_PKS5_.num_vgpr, 8
	.set _ZN2at6native12_GLOBAL__N_138nll_loss2d_forward_size_average_kernelIN3c108BFloat16EEEvPT_PKS5_.num_agpr, 0
	.set _ZN2at6native12_GLOBAL__N_138nll_loss2d_forward_size_average_kernelIN3c108BFloat16EEEvPT_PKS5_.numbered_sgpr, 6
	.set _ZN2at6native12_GLOBAL__N_138nll_loss2d_forward_size_average_kernelIN3c108BFloat16EEEvPT_PKS5_.num_named_barrier, 0
	.set _ZN2at6native12_GLOBAL__N_138nll_loss2d_forward_size_average_kernelIN3c108BFloat16EEEvPT_PKS5_.private_seg_size, 0
	.set _ZN2at6native12_GLOBAL__N_138nll_loss2d_forward_size_average_kernelIN3c108BFloat16EEEvPT_PKS5_.uses_vcc, 1
	.set _ZN2at6native12_GLOBAL__N_138nll_loss2d_forward_size_average_kernelIN3c108BFloat16EEEvPT_PKS5_.uses_flat_scratch, 0
	.set _ZN2at6native12_GLOBAL__N_138nll_loss2d_forward_size_average_kernelIN3c108BFloat16EEEvPT_PKS5_.has_dyn_sized_stack, 0
	.set _ZN2at6native12_GLOBAL__N_138nll_loss2d_forward_size_average_kernelIN3c108BFloat16EEEvPT_PKS5_.has_recursion, 0
	.set _ZN2at6native12_GLOBAL__N_138nll_loss2d_forward_size_average_kernelIN3c108BFloat16EEEvPT_PKS5_.has_indirect_call, 0
	.section	.AMDGPU.csdata,"",@progbits
; Kernel info:
; codeLenInByte = 172
; TotalNumSgprs: 10
; NumVgprs: 8
; ScratchSize: 0
; MemoryBound: 0
; FloatMode: 240
; IeeeMode: 1
; LDSByteSize: 0 bytes/workgroup (compile time only)
; SGPRBlocks: 1
; VGPRBlocks: 1
; NumSGPRsForWavesPerEU: 10
; NumVGPRsForWavesPerEU: 8
; Occupancy: 10
; WaveLimiterHint : 0
; COMPUTE_PGM_RSRC2:SCRATCH_EN: 0
; COMPUTE_PGM_RSRC2:USER_SGPR: 6
; COMPUTE_PGM_RSRC2:TRAP_HANDLER: 0
; COMPUTE_PGM_RSRC2:TGID_X_EN: 1
; COMPUTE_PGM_RSRC2:TGID_Y_EN: 0
; COMPUTE_PGM_RSRC2:TGID_Z_EN: 0
; COMPUTE_PGM_RSRC2:TIDIG_COMP_CNT: 0
	.section	.text._ZN2at6native12_GLOBAL__N_125nll_loss2d_forward_kernelIN3c108BFloat16EflEEvPT_S6_PKS5_PKlS8_iiil,"axG",@progbits,_ZN2at6native12_GLOBAL__N_125nll_loss2d_forward_kernelIN3c108BFloat16EflEEvPT_S6_PKS5_PKlS8_iiil,comdat
	.globl	_ZN2at6native12_GLOBAL__N_125nll_loss2d_forward_kernelIN3c108BFloat16EflEEvPT_S6_PKS5_PKlS8_iiil ; -- Begin function _ZN2at6native12_GLOBAL__N_125nll_loss2d_forward_kernelIN3c108BFloat16EflEEvPT_S6_PKS5_PKlS8_iiil
	.p2align	8
	.type	_ZN2at6native12_GLOBAL__N_125nll_loss2d_forward_kernelIN3c108BFloat16EflEEvPT_S6_PKS5_PKlS8_iiil,@function
_ZN2at6native12_GLOBAL__N_125nll_loss2d_forward_kernelIN3c108BFloat16EflEEvPT_S6_PKS5_PKlS8_iiil: ; @_ZN2at6native12_GLOBAL__N_125nll_loss2d_forward_kernelIN3c108BFloat16EflEEvPT_S6_PKS5_PKlS8_iiil
; %bb.0:
	s_load_dwordx4 s[16:19], s[4:5], 0x28
	s_load_dwordx2 s[24:25], s[4:5], 0x20
	s_load_dwordx8 s[8:15], s[4:5], 0x0
	s_load_dword s3, s[4:5], 0x4c
	s_mov_b64 s[0:1], -1
	s_mov_b64 s[22:23], 0
	s_waitcnt lgkmcnt(0)
	v_cvt_f32_u32_e32 v1, s18
	s_sub_i32 s2, 0, s18
	v_mov_b32_e32 v3, 0
	s_mov_b64 s[20:21], 0
	v_rcp_iflag_f32_e32 v1, v1
	v_mov_b32_e32 v4, 0
	v_mul_f32_e32 v1, 0x4f7ffffe, v1
	v_cvt_u32_f32_e32 v1, v1
	v_readfirstlane_b32 s7, v1
	s_mul_i32 s2, s2, s7
	s_mul_hi_u32 s2, s7, s2
	s_add_i32 s7, s7, s2
	s_mul_hi_u32 s2, s6, s7
	s_mul_i32 s7, s2, s18
	s_sub_i32 s7, s6, s7
	s_add_i32 s19, s2, 1
	s_sub_i32 s26, s7, s18
	s_cmp_ge_u32 s7, s18
	s_cselect_b32 s2, s19, s2
	s_cselect_b32 s7, s26, s7
	s_add_i32 s19, s2, 1
	s_cmp_ge_u32 s7, s18
	s_cselect_b32 s2, s19, s2
	s_and_b32 s33, s3, 0xffff
	s_mul_i32 s3, s2, s18
	s_sub_i32 s3, s6, s3
	s_mul_i32 s3, s3, s33
	v_add_u32_e32 v1, s3, v0
	v_cmp_gt_i32_e32 vcc, s17, v1
	s_and_saveexec_b64 s[6:7], vcc
	s_cbranch_execnz .LBB15_6
; %bb.1:
	s_or_b64 exec, exec, s[6:7]
	s_and_saveexec_b64 s[2:3], s[0:1]
	s_xor_b64 s[4:5], exec, s[2:3]
	s_cbranch_execnz .LBB15_22
.LBB15_2:
	s_or_b64 exec, exec, s[4:5]
	s_mov_b64 s[0:1], 0
	s_and_saveexec_b64 s[2:3], s[22:23]
	s_cbranch_execnz .LBB15_40
.LBB15_3:
	s_or_b64 exec, exec, s[2:3]
	s_and_saveexec_b64 s[2:3], s[20:21]
	s_cbranch_execnz .LBB15_41
.LBB15_4:
	s_or_b64 exec, exec, s[2:3]
	s_and_saveexec_b64 s[2:3], s[0:1]
	s_cbranch_execnz .LBB15_42
.LBB15_5:
	s_endpgm
.LBB15_6:
	s_ashr_i32 s38, s17, 31
	s_mul_hi_u32 s0, s2, s17
	s_mul_i32 s1, s2, s38
	s_mov_b32 s39, s17
	s_add_i32 s1, s0, s1
	s_mul_i32 s0, s2, s17
	s_ashr_i32 s17, s16, 31
	s_cmp_lg_u64 s[24:25], 0
	s_cselect_b64 s[2:3], -1, 0
	s_lshl_b64 s[22:23], s[0:1], 3
	v_ashrrev_i32_e32 v2, 31, v1
	v_lshlrev_b64 v[3:4], 3, v[1:2]
	s_add_u32 s14, s14, s22
	s_addc_u32 s15, s15, s23
	v_mov_b32_e32 v5, s15
	v_add_co_u32_e32 v3, vcc, s14, v3
	v_addc_co_u32_e32 v4, vcc, v5, v4, vcc
	v_mov_b32_e32 v5, s16
	s_load_dwordx2 s[4:5], s[4:5], 0x38
	v_mad_u64_u32 v[5:6], s[22:23], s0, v5, v[1:2]
	s_mul_i32 s20, s18, s33
	s_mul_i32 s0, s0, s17
	;; [unrolled: 1-line block ×3, first 2 shown]
	s_ashr_i32 s21, s20, 31
	s_add_i32 s0, s0, s1
	v_cndmask_b32_e64 v7, 0, 1, s[2:3]
	s_mov_b64 s[18:19], 0
	s_lshl_b64 s[14:15], s[20:21], 3
	v_add_u32_e32 v6, s0, v6
	v_mov_b32_e32 v2, 0
	s_movk_i32 s40, 0x7fff
	v_cmp_ne_u32_e64 s[0:1], 1, v7
	v_mov_b32_e32 v12, 0x7fc00000
	v_mov_b32_e32 v11, 0
                                        ; implicit-def: $sgpr26_sgpr27
                                        ; implicit-def: $sgpr22_sgpr23
	s_branch .LBB15_8
.LBB15_7:                               ;   in Loop: Header=BB15_8 Depth=1
	s_or_b64 exec, exec, s[28:29]
	s_xor_b64 s[28:29], s[30:31], -1
	s_xor_b64 s[2:3], s[2:3], -1
	s_and_b64 s[30:31], exec, s[36:37]
	s_or_b64 s[18:19], s[30:31], s[18:19]
	s_andn2_b64 s[22:23], s[22:23], exec
	s_and_b64 s[28:29], s[28:29], exec
	s_andn2_b64 s[26:27], s[26:27], exec
	s_and_b64 s[2:3], s[2:3], exec
	s_or_b64 s[22:23], s[22:23], s[28:29]
	s_or_b64 s[26:27], s[26:27], s[2:3]
	s_andn2_b64 exec, exec, s[18:19]
	s_cbranch_execz .LBB15_19
.LBB15_8:                               ; =>This Inner Loop Header: Depth=1
	global_load_dwordx2 v[7:8], v[3:4], off
	s_mov_b64 s[34:35], -1
                                        ; implicit-def: $sgpr2_sgpr3
                                        ; implicit-def: $sgpr30_sgpr31
	s_waitcnt vmcnt(0) lgkmcnt(0)
	v_cmp_ne_u64_e32 vcc, s[4:5], v[7:8]
	s_and_saveexec_b64 s[28:29], vcc
	s_cbranch_execz .LBB15_17
; %bb.9:                                ;   in Loop: Header=BB15_8 Depth=1
	v_cmp_lt_i64_e32 vcc, -1, v[7:8]
	v_cmp_gt_i64_e64 s[2:3], s[16:17], v[7:8]
	s_mov_b64 s[36:37], 0
	s_and_b64 s[42:43], vcc, s[2:3]
	s_mov_b64 s[2:3], -1
	s_mov_b64 s[30:31], 0
	s_and_saveexec_b64 s[34:35], s[42:43]
	s_cbranch_execz .LBB15_16
; %bb.10:                               ;   in Loop: Header=BB15_8 Depth=1
	s_and_b64 vcc, exec, s[0:1]
	s_cbranch_vccnz .LBB15_12
; %bb.11:                               ;   in Loop: Header=BB15_8 Depth=1
	v_lshlrev_b64 v[9:10], 1, v[7:8]
	v_mov_b32_e32 v13, s25
	v_add_co_u32_e32 v9, vcc, s24, v9
	v_addc_co_u32_e32 v10, vcc, v13, v10, vcc
	global_load_ushort v9, v[9:10], off
	s_waitcnt vmcnt(0)
	v_lshlrev_b32_e32 v13, 16, v9
	s_branch .LBB15_13
.LBB15_12:                              ;   in Loop: Header=BB15_8 Depth=1
	v_mov_b32_e32 v13, 1.0
.LBB15_13:                              ;   in Loop: Header=BB15_8 Depth=1
	v_mad_u64_u32 v[9:10], s[2:3], v7, s39, v[5:6]
	v_mul_lo_u32 v7, v7, s38
	v_mul_lo_u32 v8, v8, s39
	v_add3_u32 v10, v8, v10, v7
	v_cmp_lt_i64_e32 vcc, -1, v[9:10]
	s_and_saveexec_b64 s[2:3], vcc
	s_cbranch_execz .LBB15_15
; %bb.14:                               ;   in Loop: Header=BB15_8 Depth=1
	v_lshlrev_b64 v[7:8], 1, v[9:10]
	v_mov_b32_e32 v9, s13
	v_add_co_u32_e32 v7, vcc, s12, v7
	v_addc_co_u32_e32 v8, vcc, v9, v8, vcc
	global_load_ushort v7, v[7:8], off
	s_mov_b64 s[36:37], exec
	v_add_f32_e32 v11, v11, v13
	s_waitcnt vmcnt(0)
	v_lshlrev_b32_e32 v7, 16, v7
	v_mul_f32_e32 v7, v13, v7
	v_bfe_u32 v8, v7, 16, 1
	v_add3_u32 v8, v7, v8, s40
	v_and_b32_e32 v8, 0xffff0000, v8
	v_cmp_o_f32_e32 vcc, v7, v7
	v_cndmask_b32_e32 v7, v12, v8, vcc
	v_sub_f32_e32 v2, v2, v7
.LBB15_15:                              ;   in Loop: Header=BB15_8 Depth=1
	s_or_b64 exec, exec, s[2:3]
	s_mov_b64 s[30:31], exec
	s_xor_b64 s[2:3], exec, -1
	s_and_b64 s[36:37], s[36:37], exec
.LBB15_16:                              ;   in Loop: Header=BB15_8 Depth=1
	s_or_b64 exec, exec, s[34:35]
	s_orn2_b64 s[34:35], s[36:37], exec
.LBB15_17:                              ;   in Loop: Header=BB15_8 Depth=1
	s_or_b64 exec, exec, s[28:29]
	s_mov_b64 s[36:37], -1
	s_and_saveexec_b64 s[28:29], s[34:35]
	s_cbranch_execz .LBB15_7
; %bb.18:                               ;   in Loop: Header=BB15_8 Depth=1
	v_mov_b32_e32 v7, s15
	v_add_co_u32_e32 v3, vcc, s14, v3
	v_addc_co_u32_e32 v4, vcc, v4, v7, vcc
	v_mov_b32_e32 v7, s21
	v_add_co_u32_e32 v5, vcc, s20, v5
	v_add_u32_e32 v1, s20, v1
	v_addc_co_u32_e32 v6, vcc, v6, v7, vcc
	v_cmp_le_i32_e32 vcc, s39, v1
	s_andn2_b64 s[30:31], s[30:31], exec
	s_andn2_b64 s[2:3], s[2:3], exec
	s_orn2_b64 s[36:37], vcc, exec
	s_branch .LBB15_7
.LBB15_19:
	s_or_b64 exec, exec, s[18:19]
	s_mov_b64 s[0:1], 0
	s_mov_b64 s[4:5], -1
	v_mov_b32_e32 v3, 0
	s_mov_b64 s[2:3], 0
	v_mov_b32_e32 v4, 0
	s_and_saveexec_b64 s[12:13], s[26:27]
	s_xor_b64 s[12:13], exec, s[12:13]
; %bb.20:
	s_mov_b64 s[2:3], exec
	s_xor_b64 s[4:5], exec, -1
	s_and_b64 s[0:1], s[22:23], exec
	v_mov_b32_e32 v3, v2
	v_mov_b32_e32 v4, v11
; %bb.21:
	s_or_b64 exec, exec, s[12:13]
	s_and_b64 s[20:21], s[4:5], exec
	s_and_b64 s[22:23], s[2:3], exec
	s_orn2_b64 s[0:1], s[0:1], exec
	s_or_b64 exec, exec, s[6:7]
	s_and_saveexec_b64 s[2:3], s[0:1]
	s_xor_b64 s[4:5], exec, s[2:3]
	s_cbranch_execz .LBB15_2
.LBB15_22:
	v_mbcnt_lo_u32_b32 v1, -1, 0
	v_mbcnt_hi_u32_b32 v7, -1, v1
	v_mov_b32_e32 v1, 0x80
	v_lshl_or_b32 v1, v7, 2, v1
	ds_bpermute_b32 v2, v1, v4
	v_and_b32_e32 v8, 63, v7
	v_cmp_gt_u32_e32 vcc, 48, v8
	v_cndmask_b32_e64 v5, 0, 16, vcc
	v_cmp_gt_u32_e32 vcc, 56, v8
	s_waitcnt lgkmcnt(0)
	v_add_f32_e32 v6, v4, v2
	v_add_lshl_u32 v2, v5, v7, 2
	ds_bpermute_b32 v5, v2, v6
	v_cndmask_b32_e64 v4, 0, 8, vcc
	v_add_lshl_u32 v4, v4, v7, 2
	v_cmp_gt_u32_e32 vcc, 60, v8
	v_and_b32_e32 v10, 63, v0
	s_waitcnt lgkmcnt(0)
	v_add_f32_e32 v6, v6, v5
	ds_bpermute_b32 v9, v4, v6
	v_cndmask_b32_e64 v5, 0, 4, vcc
	v_add_lshl_u32 v5, v5, v7, 2
	v_cmp_gt_u32_e32 vcc, 62, v8
	s_waitcnt lgkmcnt(0)
	v_add_f32_e32 v9, v6, v9
	ds_bpermute_b32 v11, v5, v9
	v_cndmask_b32_e64 v6, 0, 2, vcc
	v_add_lshl_u32 v6, v6, v7, 2
	v_cmp_ne_u32_e32 vcc, 63, v8
	v_addc_co_u32_e32 v7, vcc, 0, v7, vcc
	s_waitcnt lgkmcnt(0)
	v_add_f32_e32 v9, v9, v11
	ds_bpermute_b32 v11, v6, v9
	v_lshlrev_b32_e32 v7, 2, v7
	v_cmp_eq_u32_e32 vcc, 0, v10
	s_waitcnt lgkmcnt(0)
	s_barrier
	v_add_f32_e32 v8, v9, v11
	ds_bpermute_b32 v11, v7, v8
	v_lshrrev_b32_e32 v9, 4, v0
	s_and_saveexec_b64 s[0:1], vcc
	s_cbranch_execz .LBB15_24
; %bb.23:
	s_waitcnt lgkmcnt(0)
	v_add_f32_e32 v8, v8, v11
	ds_write_b32 v9, v8 offset:4096
.LBB15_24:
	s_or_b64 exec, exec, s[0:1]
	s_lshr_b32 s0, s33, 6
	v_cmp_gt_u32_e64 s[0:1], s0, v0
	v_mov_b32_e32 v8, 0
	v_lshlrev_b32_e32 v10, 2, v10
	s_waitcnt lgkmcnt(0)
	s_barrier
	s_and_saveexec_b64 s[2:3], s[0:1]
; %bb.25:
	ds_read_b32 v8, v10 offset:4096
; %bb.26:
	s_or_b64 exec, exec, s[2:3]
	v_cmp_gt_u32_e64 s[2:3], 64, v0
	s_and_saveexec_b64 s[6:7], s[2:3]
	s_cbranch_execz .LBB15_28
; %bb.27:
	s_waitcnt lgkmcnt(0)
	ds_bpermute_b32 v11, v1, v8
	s_waitcnt lgkmcnt(0)
	v_add_f32_e32 v8, v8, v11
	ds_bpermute_b32 v11, v2, v8
	s_waitcnt lgkmcnt(0)
	v_add_f32_e32 v8, v8, v11
	;; [unrolled: 3-line block ×6, first 2 shown]
.LBB15_28:
	s_or_b64 exec, exec, s[6:7]
	ds_bpermute_b32 v11, v1, v3
	s_waitcnt lgkmcnt(0)
	s_barrier
	v_add_f32_e32 v3, v3, v11
	ds_bpermute_b32 v11, v2, v3
	s_waitcnt lgkmcnt(0)
	v_add_f32_e32 v3, v3, v11
	ds_bpermute_b32 v11, v4, v3
	s_waitcnt lgkmcnt(0)
	;; [unrolled: 3-line block ×4, first 2 shown]
	v_add_f32_e32 v3, v3, v11
	ds_bpermute_b32 v11, v7, v3
	s_and_saveexec_b64 s[6:7], vcc
	s_cbranch_execz .LBB15_30
; %bb.29:
	s_waitcnt lgkmcnt(0)
	v_add_f32_e32 v3, v3, v11
	ds_write_b32 v9, v3
.LBB15_30:
	s_or_b64 exec, exec, s[6:7]
	v_mov_b32_e32 v3, 0
	s_waitcnt lgkmcnt(0)
	s_barrier
	s_and_saveexec_b64 s[6:7], s[0:1]
; %bb.31:
	ds_read_b32 v3, v10
; %bb.32:
	s_or_b64 exec, exec, s[6:7]
	s_and_saveexec_b64 s[0:1], s[2:3]
	s_cbranch_execz .LBB15_34
; %bb.33:
	s_waitcnt lgkmcnt(0)
	ds_bpermute_b32 v1, v1, v3
	s_waitcnt lgkmcnt(0)
	v_add_f32_e32 v1, v3, v1
	ds_bpermute_b32 v2, v2, v1
	s_waitcnt lgkmcnt(0)
	v_add_f32_e32 v1, v1, v2
	;; [unrolled: 3-line block ×6, first 2 shown]
.LBB15_34:
	s_or_b64 exec, exec, s[0:1]
	s_mov_b32 s1, 0
	v_cmp_eq_u32_e32 vcc, 0, v0
	s_and_saveexec_b64 s[2:3], vcc
	s_cbranch_execz .LBB15_39
; %bb.35:
	s_and_b32 s0, s10, 2
	s_sub_u32 s14, 0, s0
	s_subb_u32 s15, 0, 0
	s_add_u32 s10, s10, s14
	s_addc_u32 s11, s11, s15
	s_load_dword s14, s[10:11], 0x0
	v_bfe_u32 v0, v8, 16, 1
	s_movk_i32 s12, 0x7fff
	v_add3_u32 v0, v8, v0, s12
	v_and_b32_e32 v0, 0xffff0000, v0
	s_cmp_eq_u64 s[0:1], 0
	v_mov_b32_e32 v1, 0x7fc00000
	v_cmp_o_f32_e32 vcc, v8, v8
	s_mov_b32 s13, 0xffff0000
	s_mov_b64 s[6:7], 0
	s_cselect_b64 s[0:1], -1, 0
	v_cndmask_b32_e32 v2, v1, v0, vcc
	s_waitcnt lgkmcnt(0)
	v_mov_b32_e32 v1, s14
	v_mov_b32_e32 v4, 0x7fc0
	;; [unrolled: 1-line block ×3, first 2 shown]
.LBB15_36:                              ; =>This Inner Loop Header: Depth=1
	s_mov_b64 vcc, s[0:1]
	v_and_b32_e32 v0, 0xffff, v1
	v_cndmask_b32_sdwa v6, v1, v0, vcc dst_sel:WORD_1 dst_unused:UNUSED_PAD src0_sel:WORD_1 src1_sel:DWORD
	v_add_f32_e32 v6, v2, v6
	v_bfe_u32 v7, v6, 16, 1
	v_cmp_o_f32_e32 vcc, v6, v6
	v_add3_u32 v6, v6, v7, s12
	v_cndmask_b32_sdwa v6, v4, v6, vcc dst_sel:DWORD dst_unused:UNUSED_PAD src0_sel:DWORD src1_sel:WORD_1
	v_lshl_or_b32 v0, v6, 16, v0
	v_and_or_b32 v6, v1, s13, v6
	v_cndmask_b32_e64 v0, v0, v6, s[0:1]
	global_atomic_cmpswap v0, v5, v[0:1], s[10:11] glc
	s_waitcnt vmcnt(0)
	v_cmp_eq_u32_e32 vcc, v1, v0
	s_or_b64 s[6:7], vcc, s[6:7]
	v_mov_b32_e32 v1, v0
	s_andn2_b64 exec, exec, s[6:7]
	s_cbranch_execnz .LBB15_36
; %bb.37:
	s_or_b64 exec, exec, s[6:7]
	s_and_b32 s0, s8, 2
	s_sub_u32 s1, 0, s0
	s_subb_u32 s7, 0, 0
	s_add_u32 s6, s8, s1
	s_addc_u32 s7, s9, s7
	v_mov_b32_e32 v2, 0
	global_load_dword v1, v2, s[6:7]
	v_bfe_u32 v0, v3, 16, 1
	s_movk_i32 s10, 0x7fff
	v_add3_u32 v0, v3, v0, s10
	s_mov_b32 s1, 0
	v_and_b32_e32 v0, 0xffff0000, v0
	s_cmp_eq_u64 s[0:1], 0
	v_mov_b32_e32 v4, 0x7fc00000
	v_cmp_o_f32_e32 vcc, v3, v3
	s_mov_b32 s11, 0xffff0000
	s_mov_b64 s[8:9], 0
	s_cselect_b64 s[0:1], -1, 0
	v_cndmask_b32_e32 v3, v4, v0, vcc
	v_mov_b32_e32 v4, 0x7fc0
.LBB15_38:                              ; =>This Inner Loop Header: Depth=1
	s_mov_b64 vcc, s[0:1]
	s_waitcnt vmcnt(0)
	v_and_b32_e32 v0, 0xffff, v1
	v_cndmask_b32_sdwa v5, v1, v0, vcc dst_sel:WORD_1 dst_unused:UNUSED_PAD src0_sel:WORD_1 src1_sel:DWORD
	v_add_f32_e32 v5, v3, v5
	v_bfe_u32 v6, v5, 16, 1
	v_cmp_o_f32_e32 vcc, v5, v5
	v_add3_u32 v5, v5, v6, s10
	v_cndmask_b32_sdwa v5, v4, v5, vcc dst_sel:DWORD dst_unused:UNUSED_PAD src0_sel:DWORD src1_sel:WORD_1
	v_lshl_or_b32 v0, v5, 16, v0
	v_and_or_b32 v5, v1, s11, v5
	v_cndmask_b32_e64 v0, v0, v5, s[0:1]
	global_atomic_cmpswap v0, v2, v[0:1], s[6:7] glc
	s_waitcnt vmcnt(0)
	v_cmp_eq_u32_e32 vcc, v1, v0
	s_or_b64 s[8:9], vcc, s[8:9]
	v_mov_b32_e32 v1, v0
	s_andn2_b64 exec, exec, s[8:9]
	s_cbranch_execnz .LBB15_38
.LBB15_39:
	s_or_b64 exec, exec, s[2:3]
	s_andn2_b64 s[22:23], s[22:23], exec
	s_or_b64 exec, exec, s[4:5]
	s_mov_b64 s[0:1], 0
	s_and_saveexec_b64 s[2:3], s[22:23]
	s_cbranch_execz .LBB15_3
.LBB15_40:
	s_mov_b64 s[0:1], exec
	s_trap 2
	s_or_b64 exec, exec, s[2:3]
	s_and_saveexec_b64 s[2:3], s[20:21]
	s_cbranch_execz .LBB15_4
.LBB15_41:
	s_or_b64 s[0:1], s[0:1], exec
	s_trap 2
	s_or_b64 exec, exec, s[2:3]
	s_and_saveexec_b64 s[2:3], s[0:1]
	s_cbranch_execz .LBB15_5
.LBB15_42:
	; divergent unreachable
	s_endpgm
	.section	.rodata,"a",@progbits
	.p2align	6, 0x0
	.amdhsa_kernel _ZN2at6native12_GLOBAL__N_125nll_loss2d_forward_kernelIN3c108BFloat16EflEEvPT_S6_PKS5_PKlS8_iiil
		.amdhsa_group_segment_fixed_size 8192
		.amdhsa_private_segment_fixed_size 0
		.amdhsa_kernarg_size 320
		.amdhsa_user_sgpr_count 6
		.amdhsa_user_sgpr_private_segment_buffer 1
		.amdhsa_user_sgpr_dispatch_ptr 0
		.amdhsa_user_sgpr_queue_ptr 0
		.amdhsa_user_sgpr_kernarg_segment_ptr 1
		.amdhsa_user_sgpr_dispatch_id 0
		.amdhsa_user_sgpr_flat_scratch_init 0
		.amdhsa_user_sgpr_private_segment_size 0
		.amdhsa_uses_dynamic_stack 0
		.amdhsa_system_sgpr_private_segment_wavefront_offset 0
		.amdhsa_system_sgpr_workgroup_id_x 1
		.amdhsa_system_sgpr_workgroup_id_y 0
		.amdhsa_system_sgpr_workgroup_id_z 0
		.amdhsa_system_sgpr_workgroup_info 0
		.amdhsa_system_vgpr_workitem_id 0
		.amdhsa_next_free_vgpr 29
		.amdhsa_next_free_sgpr 61
		.amdhsa_reserve_vcc 1
		.amdhsa_reserve_flat_scratch 0
		.amdhsa_float_round_mode_32 0
		.amdhsa_float_round_mode_16_64 0
		.amdhsa_float_denorm_mode_32 3
		.amdhsa_float_denorm_mode_16_64 3
		.amdhsa_dx10_clamp 1
		.amdhsa_ieee_mode 1
		.amdhsa_fp16_overflow 0
		.amdhsa_exception_fp_ieee_invalid_op 0
		.amdhsa_exception_fp_denorm_src 0
		.amdhsa_exception_fp_ieee_div_zero 0
		.amdhsa_exception_fp_ieee_overflow 0
		.amdhsa_exception_fp_ieee_underflow 0
		.amdhsa_exception_fp_ieee_inexact 0
		.amdhsa_exception_int_div_zero 0
	.end_amdhsa_kernel
	.section	.text._ZN2at6native12_GLOBAL__N_125nll_loss2d_forward_kernelIN3c108BFloat16EflEEvPT_S6_PKS5_PKlS8_iiil,"axG",@progbits,_ZN2at6native12_GLOBAL__N_125nll_loss2d_forward_kernelIN3c108BFloat16EflEEvPT_S6_PKS5_PKlS8_iiil,comdat
.Lfunc_end15:
	.size	_ZN2at6native12_GLOBAL__N_125nll_loss2d_forward_kernelIN3c108BFloat16EflEEvPT_S6_PKS5_PKlS8_iiil, .Lfunc_end15-_ZN2at6native12_GLOBAL__N_125nll_loss2d_forward_kernelIN3c108BFloat16EflEEvPT_S6_PKS5_PKlS8_iiil
                                        ; -- End function
	.set _ZN2at6native12_GLOBAL__N_125nll_loss2d_forward_kernelIN3c108BFloat16EflEEvPT_S6_PKS5_PKlS8_iiil.num_vgpr, 14
	.set _ZN2at6native12_GLOBAL__N_125nll_loss2d_forward_kernelIN3c108BFloat16EflEEvPT_S6_PKS5_PKlS8_iiil.num_agpr, 0
	.set _ZN2at6native12_GLOBAL__N_125nll_loss2d_forward_kernelIN3c108BFloat16EflEEvPT_S6_PKS5_PKlS8_iiil.numbered_sgpr, 44
	.set _ZN2at6native12_GLOBAL__N_125nll_loss2d_forward_kernelIN3c108BFloat16EflEEvPT_S6_PKS5_PKlS8_iiil.num_named_barrier, 0
	.set _ZN2at6native12_GLOBAL__N_125nll_loss2d_forward_kernelIN3c108BFloat16EflEEvPT_S6_PKS5_PKlS8_iiil.private_seg_size, 0
	.set _ZN2at6native12_GLOBAL__N_125nll_loss2d_forward_kernelIN3c108BFloat16EflEEvPT_S6_PKS5_PKlS8_iiil.uses_vcc, 1
	.set _ZN2at6native12_GLOBAL__N_125nll_loss2d_forward_kernelIN3c108BFloat16EflEEvPT_S6_PKS5_PKlS8_iiil.uses_flat_scratch, 0
	.set _ZN2at6native12_GLOBAL__N_125nll_loss2d_forward_kernelIN3c108BFloat16EflEEvPT_S6_PKS5_PKlS8_iiil.has_dyn_sized_stack, 0
	.set _ZN2at6native12_GLOBAL__N_125nll_loss2d_forward_kernelIN3c108BFloat16EflEEvPT_S6_PKS5_PKlS8_iiil.has_recursion, 0
	.set _ZN2at6native12_GLOBAL__N_125nll_loss2d_forward_kernelIN3c108BFloat16EflEEvPT_S6_PKS5_PKlS8_iiil.has_indirect_call, 0
	.section	.AMDGPU.csdata,"",@progbits
; Kernel info:
; codeLenInByte = 2080
; TotalNumSgprs: 48
; NumVgprs: 14
; ScratchSize: 0
; MemoryBound: 0
; FloatMode: 240
; IeeeMode: 1
; LDSByteSize: 8192 bytes/workgroup (compile time only)
; SGPRBlocks: 8
; VGPRBlocks: 7
; NumSGPRsForWavesPerEU: 65
; NumVGPRsForWavesPerEU: 29
; Occupancy: 8
; WaveLimiterHint : 1
; COMPUTE_PGM_RSRC2:SCRATCH_EN: 0
; COMPUTE_PGM_RSRC2:USER_SGPR: 6
; COMPUTE_PGM_RSRC2:TRAP_HANDLER: 0
; COMPUTE_PGM_RSRC2:TGID_X_EN: 1
; COMPUTE_PGM_RSRC2:TGID_Y_EN: 0
; COMPUTE_PGM_RSRC2:TGID_Z_EN: 0
; COMPUTE_PGM_RSRC2:TIDIG_COMP_CNT: 0
	.section	.text._ZN2at6native12_GLOBAL__N_136nll_loss2d_backward_no_reduce_kernelIdEEvlN5torch10headeronly6detail27GenericPackedTensorAccessorINS5_14TensorAccessorIN3c108ArrayRefIlEElLm2ENS4_16DefaultPtrTraitsElEENS_6detail16IndexBoundsCheckILm3ElEElLm3ESB_lEENS6_INS7_ISA_T_Lm2ESB_lEESF_SH_Lm3ESB_lEENS6_INS7_ISA_SH_Lm3ESB_lEENSE_ILm4ElEESH_Lm4ESB_lEEPKSH_l,"axG",@progbits,_ZN2at6native12_GLOBAL__N_136nll_loss2d_backward_no_reduce_kernelIdEEvlN5torch10headeronly6detail27GenericPackedTensorAccessorINS5_14TensorAccessorIN3c108ArrayRefIlEElLm2ENS4_16DefaultPtrTraitsElEENS_6detail16IndexBoundsCheckILm3ElEElLm3ESB_lEENS6_INS7_ISA_T_Lm2ESB_lEESF_SH_Lm3ESB_lEENS6_INS7_ISA_SH_Lm3ESB_lEENSE_ILm4ElEESH_Lm4ESB_lEEPKSH_l,comdat
	.globl	_ZN2at6native12_GLOBAL__N_136nll_loss2d_backward_no_reduce_kernelIdEEvlN5torch10headeronly6detail27GenericPackedTensorAccessorINS5_14TensorAccessorIN3c108ArrayRefIlEElLm2ENS4_16DefaultPtrTraitsElEENS_6detail16IndexBoundsCheckILm3ElEElLm3ESB_lEENS6_INS7_ISA_T_Lm2ESB_lEESF_SH_Lm3ESB_lEENS6_INS7_ISA_SH_Lm3ESB_lEENSE_ILm4ElEESH_Lm4ESB_lEEPKSH_l ; -- Begin function _ZN2at6native12_GLOBAL__N_136nll_loss2d_backward_no_reduce_kernelIdEEvlN5torch10headeronly6detail27GenericPackedTensorAccessorINS5_14TensorAccessorIN3c108ArrayRefIlEElLm2ENS4_16DefaultPtrTraitsElEENS_6detail16IndexBoundsCheckILm3ElEElLm3ESB_lEENS6_INS7_ISA_T_Lm2ESB_lEESF_SH_Lm3ESB_lEENS6_INS7_ISA_SH_Lm3ESB_lEENSE_ILm4ElEESH_Lm4ESB_lEEPKSH_l
	.p2align	8
	.type	_ZN2at6native12_GLOBAL__N_136nll_loss2d_backward_no_reduce_kernelIdEEvlN5torch10headeronly6detail27GenericPackedTensorAccessorINS5_14TensorAccessorIN3c108ArrayRefIlEElLm2ENS4_16DefaultPtrTraitsElEENS_6detail16IndexBoundsCheckILm3ElEElLm3ESB_lEENS6_INS7_ISA_T_Lm2ESB_lEESF_SH_Lm3ESB_lEENS6_INS7_ISA_SH_Lm3ESB_lEENSE_ILm4ElEESH_Lm4ESB_lEEPKSH_l,@function
_ZN2at6native12_GLOBAL__N_136nll_loss2d_backward_no_reduce_kernelIdEEvlN5torch10headeronly6detail27GenericPackedTensorAccessorINS5_14TensorAccessorIN3c108ArrayRefIlEElLm2ENS4_16DefaultPtrTraitsElEENS_6detail16IndexBoundsCheckILm3ElEElLm3ESB_lEENS6_INS7_ISA_T_Lm2ESB_lEESF_SH_Lm3ESB_lEENS6_INS7_ISA_SH_Lm3ESB_lEENSE_ILm4ElEESH_Lm4ESB_lEEPKSH_l: ; @_ZN2at6native12_GLOBAL__N_136nll_loss2d_backward_no_reduce_kernelIdEEvlN5torch10headeronly6detail27GenericPackedTensorAccessorINS5_14TensorAccessorIN3c108ArrayRefIlEElLm2ENS4_16DefaultPtrTraitsElEENS_6detail16IndexBoundsCheckILm3ElEElLm3ESB_lEENS6_INS7_ISA_T_Lm2ESB_lEESF_SH_Lm3ESB_lEENS6_INS7_ISA_SH_Lm3ESB_lEENSE_ILm4ElEESH_Lm4ESB_lEEPKSH_l
; %bb.0:
	s_load_dword s2, s[4:5], 0xdc
	s_load_dwordx2 s[34:35], s[4:5], 0x0
	s_add_u32 s0, s4, 0xd0
	v_mov_b32_e32 v2, 0
	s_addc_u32 s1, s5, 0
	s_waitcnt lgkmcnt(0)
	s_and_b32 s2, s2, 0xffff
	v_mov_b32_e32 v1, v2
	v_mov_b32_e32 v3, s6
	v_mad_u64_u32 v[0:1], s[6:7], s2, v3, v[0:1]
	v_cmp_gt_i64_e32 vcc, s[34:35], v[0:1]
	s_and_saveexec_b64 s[6:7], vcc
	s_cbranch_execz .LBB16_29
; %bb.1:
	s_load_dwordx4 s[36:39], s[4:5], 0xc0
	s_load_dwordx2 s[6:7], s[4:5], 0x8
	s_load_dwordx4 s[40:43], s[4:5], 0x10
	s_load_dwordx2 s[44:45], s[4:5], 0x20
	s_load_dwordx8 s[8:15], s[4:5], 0x28
	s_load_dwordx2 s[46:47], s[4:5], 0x88
	s_load_dword s3, s[0:1], 0x0
	s_waitcnt lgkmcnt(0)
	s_mul_i32 s0, s42, s41
	s_mul_hi_u32 s1, s42, s40
	s_load_dwordx8 s[16:23], s[4:5], 0x60
	s_load_dwordx8 s[24:31], s[4:5], 0xa0
	s_add_i32 s0, s1, s0
	s_mul_i32 s1, s43, s40
	s_add_i32 s33, s0, s1
	v_mov_b32_e32 v3, v0
	s_cmp_lg_u64 s[36:37], 0
	s_mul_i32 s59, s3, s2
	v_mov_b32_e32 v5, v3
	s_mul_i32 s58, s42, s40
	s_mov_b64 s[48:49], 0
	s_cselect_b64 s[50:51], -1, 0
	s_mov_b32 s60, s59
	v_mov_b32_e32 v4, v2
                                        ; implicit-def: $sgpr4_sgpr5
                                        ; implicit-def: $sgpr52_sgpr53
	s_branch .LBB16_3
.LBB16_2:                               ;   in Loop: Header=BB16_3 Depth=1
	s_or_b64 exec, exec, s[0:1]
	s_and_b64 s[0:1], exec, s[2:3]
	s_or_b64 s[48:49], s[0:1], s[48:49]
	s_andn2_b64 s[0:1], s[4:5], exec
	s_and_b64 s[2:3], s[52:53], exec
	s_or_b64 s[4:5], s[0:1], s[2:3]
	s_andn2_b64 exec, exec, s[48:49]
	s_cbranch_execz .LBB16_28
.LBB16_3:                               ; =>This Inner Loop Header: Depth=1
	v_ashrrev_i32_e32 v14, 31, v5
	v_or_b32_e32 v3, s41, v14
	v_cmp_ne_u64_e32 vcc, 0, v[2:3]
	v_mov_b32_e32 v15, v5
	v_ashrrev_i32_e32 v10, 31, v14
                                        ; implicit-def: $vgpr6_vgpr7
	s_and_saveexec_b64 s[0:1], vcc
	s_xor_b64 s[2:3], exec, s[0:1]
	s_cbranch_execz .LBB16_5
; %bb.4:                                ;   in Loop: Header=BB16_3 Depth=1
	s_ashr_i32 s54, s41, 31
	s_add_u32 s0, s40, s54
	s_mov_b32 s55, s54
	s_addc_u32 s1, s41, s54
	s_xor_b64 s[56:57], s[0:1], s[54:55]
	v_cvt_f32_u32_e32 v3, s56
	v_cvt_f32_u32_e32 v6, s57
	s_sub_u32 s55, 0, s56
	s_subb_u32 s61, 0, s57
	v_mac_f32_e32 v3, 0x4f800000, v6
	v_rcp_f32_e32 v3, v3
	v_mul_f32_e32 v3, 0x5f7ffffc, v3
	v_mul_f32_e32 v6, 0x2f800000, v3
	v_trunc_f32_e32 v6, v6
	v_mac_f32_e32 v3, 0xcf800000, v6
	v_cvt_u32_f32_e32 v6, v6
	v_cvt_u32_f32_e32 v3, v3
	v_readfirstlane_b32 s62, v6
	v_readfirstlane_b32 s0, v3
	s_mul_i32 s1, s55, s62
	s_mul_hi_u32 s64, s55, s0
	s_mul_i32 s63, s61, s0
	s_add_i32 s1, s64, s1
	s_add_i32 s1, s1, s63
	s_mul_i32 s65, s55, s0
	s_mul_i32 s64, s0, s1
	s_mul_hi_u32 s66, s0, s65
	s_mul_hi_u32 s63, s0, s1
	s_add_u32 s64, s66, s64
	s_addc_u32 s63, 0, s63
	s_mul_hi_u32 s67, s62, s65
	s_mul_i32 s65, s62, s65
	s_add_u32 s64, s64, s65
	s_mul_hi_u32 s66, s62, s1
	s_addc_u32 s63, s63, s67
	s_addc_u32 s64, s66, 0
	s_mul_i32 s1, s62, s1
	s_add_u32 s1, s63, s1
	s_addc_u32 s63, 0, s64
	s_add_u32 s64, s0, s1
	s_cselect_b64 s[0:1], -1, 0
	s_cmp_lg_u64 s[0:1], 0
	s_addc_u32 s62, s62, s63
	s_mul_i32 s0, s55, s62
	s_mul_hi_u32 s1, s55, s64
	s_add_i32 s0, s1, s0
	s_mul_i32 s61, s61, s64
	s_add_i32 s0, s0, s61
	s_mul_i32 s55, s55, s64
	s_mul_hi_u32 s61, s62, s55
	s_mul_i32 s63, s62, s55
	s_mul_i32 s66, s64, s0
	s_mul_hi_u32 s55, s64, s55
	s_mul_hi_u32 s65, s64, s0
	s_add_u32 s55, s55, s66
	s_addc_u32 s65, 0, s65
	s_add_u32 s55, s55, s63
	s_mul_hi_u32 s1, s62, s0
	s_addc_u32 s55, s65, s61
	s_addc_u32 s1, s1, 0
	s_mul_i32 s0, s62, s0
	s_add_u32 s0, s55, s0
	s_addc_u32 s55, 0, s1
	s_add_u32 s61, s64, s0
	s_cselect_b64 s[0:1], -1, 0
	s_cmp_lg_u64 s[0:1], 0
	v_add_co_u32_e32 v3, vcc, v15, v10
	s_addc_u32 s55, s62, s55
	v_xor_b32_e32 v3, v3, v10
	v_mad_u64_u32 v[6:7], s[0:1], v3, s55, 0
	v_mul_hi_u32 v9, v3, s61
	v_addc_co_u32_e32 v8, vcc, v14, v10, vcc
	v_xor_b32_e32 v11, v8, v10
	v_add_co_u32_e32 v12, vcc, v9, v6
	v_addc_co_u32_e32 v13, vcc, 0, v7, vcc
	v_mad_u64_u32 v[6:7], s[0:1], v11, s61, 0
	v_mad_u64_u32 v[8:9], s[0:1], v11, s55, 0
	v_add_co_u32_e32 v6, vcc, v12, v6
	v_addc_co_u32_e32 v6, vcc, v13, v7, vcc
	v_addc_co_u32_e32 v7, vcc, 0, v9, vcc
	v_add_co_u32_e32 v8, vcc, v6, v8
	v_addc_co_u32_e32 v9, vcc, 0, v7, vcc
	v_mul_lo_u32 v12, s57, v8
	v_mul_lo_u32 v13, s56, v9
	v_mad_u64_u32 v[6:7], s[0:1], s56, v8, 0
	v_add3_u32 v7, v7, v13, v12
	v_sub_u32_e32 v12, v11, v7
	v_mov_b32_e32 v13, s57
	v_sub_co_u32_e32 v3, vcc, v3, v6
	v_subb_co_u32_e64 v6, s[0:1], v12, v13, vcc
	v_subrev_co_u32_e64 v12, s[0:1], s56, v3
	v_subbrev_co_u32_e64 v6, s[0:1], 0, v6, s[0:1]
	v_cmp_le_u32_e64 s[0:1], s57, v6
	v_cndmask_b32_e64 v13, 0, -1, s[0:1]
	v_cmp_le_u32_e64 s[0:1], s56, v12
	v_cndmask_b32_e64 v12, 0, -1, s[0:1]
	v_cmp_eq_u32_e64 s[0:1], s57, v6
	v_cndmask_b32_e64 v6, v13, v12, s[0:1]
	v_add_co_u32_e64 v12, s[0:1], 2, v8
	v_subb_co_u32_e32 v7, vcc, v11, v7, vcc
	v_addc_co_u32_e64 v13, s[0:1], 0, v9, s[0:1]
	v_cmp_le_u32_e32 vcc, s57, v7
	v_add_co_u32_e64 v16, s[0:1], 1, v8
	v_cndmask_b32_e64 v11, 0, -1, vcc
	v_cmp_le_u32_e32 vcc, s56, v3
	v_addc_co_u32_e64 v17, s[0:1], 0, v9, s[0:1]
	v_cndmask_b32_e64 v3, 0, -1, vcc
	v_cmp_eq_u32_e32 vcc, s57, v7
	v_cmp_ne_u32_e64 s[0:1], 0, v6
	v_cndmask_b32_e32 v3, v11, v3, vcc
	v_cndmask_b32_e64 v6, v17, v13, s[0:1]
	v_cmp_ne_u32_e32 vcc, 0, v3
	v_cndmask_b32_e32 v3, v9, v6, vcc
	v_cndmask_b32_e64 v6, v16, v12, s[0:1]
	v_cndmask_b32_e32 v6, v8, v6, vcc
	v_xor_b32_e32 v7, s54, v10
	v_xor_b32_e32 v6, v6, v7
	;; [unrolled: 1-line block ×3, first 2 shown]
	v_sub_co_u32_e32 v6, vcc, v6, v7
	v_subb_co_u32_e32 v7, vcc, v3, v7, vcc
.LBB16_5:                               ;   in Loop: Header=BB16_3 Depth=1
	s_andn2_saveexec_b64 s[0:1], s[2:3]
	s_cbranch_execz .LBB16_7
; %bb.6:                                ;   in Loop: Header=BB16_3 Depth=1
	v_cvt_f32_u32_e32 v3, s40
	s_sub_i32 s2, 0, s40
	v_rcp_iflag_f32_e32 v3, v3
	v_mul_f32_e32 v3, 0x4f7ffffe, v3
	v_cvt_u32_f32_e32 v3, v3
	v_mul_lo_u32 v6, s2, v3
	v_mul_hi_u32 v6, v3, v6
	v_add_u32_e32 v3, v3, v6
	v_mul_hi_u32 v3, v15, v3
	v_mul_lo_u32 v6, v3, s40
	v_add_u32_e32 v7, 1, v3
	v_sub_u32_e32 v6, v15, v6
	v_subrev_u32_e32 v8, s40, v6
	v_cmp_le_u32_e32 vcc, s40, v6
	v_cndmask_b32_e32 v6, v6, v8, vcc
	v_cndmask_b32_e32 v3, v3, v7, vcc
	v_add_u32_e32 v7, 1, v3
	v_cmp_le_u32_e32 vcc, s40, v6
	v_cndmask_b32_e32 v6, v3, v7, vcc
	v_mov_b32_e32 v7, v2
.LBB16_7:                               ;   in Loop: Header=BB16_3 Depth=1
	s_or_b64 exec, exec, s[0:1]
	v_or_b32_e32 v3, s43, v7
	v_cmp_ne_u64_e32 vcc, 0, v[2:3]
                                        ; implicit-def: $vgpr8_vgpr9
	s_and_saveexec_b64 s[0:1], vcc
	s_xor_b64 s[54:55], exec, s[0:1]
	s_cbranch_execz .LBB16_9
; %bb.8:                                ;   in Loop: Header=BB16_3 Depth=1
	s_ashr_i32 s0, s43, 31
	s_add_u32 s2, s42, s0
	s_mov_b32 s1, s0
	s_addc_u32 s3, s43, s0
	s_xor_b64 s[56:57], s[2:3], s[0:1]
	v_cvt_f32_u32_e32 v3, s56
	v_cvt_f32_u32_e32 v8, s57
	s_sub_u32 s2, 0, s56
	s_subb_u32 s3, 0, s57
	v_mac_f32_e32 v3, 0x4f800000, v8
	v_rcp_f32_e32 v3, v3
	v_mul_f32_e32 v3, 0x5f7ffffc, v3
	v_mul_f32_e32 v8, 0x2f800000, v3
	v_trunc_f32_e32 v8, v8
	v_mac_f32_e32 v3, 0xcf800000, v8
	v_cvt_u32_f32_e32 v8, v8
	v_cvt_u32_f32_e32 v3, v3
	v_readfirstlane_b32 s61, v8
	v_readfirstlane_b32 s0, v3
	s_mul_i32 s1, s2, s61
	s_mul_hi_u32 s63, s2, s0
	s_mul_i32 s62, s3, s0
	s_add_i32 s1, s63, s1
	s_add_i32 s1, s1, s62
	s_mul_i32 s64, s2, s0
	s_mul_i32 s63, s0, s1
	s_mul_hi_u32 s65, s0, s64
	s_mul_hi_u32 s62, s0, s1
	s_add_u32 s63, s65, s63
	s_addc_u32 s62, 0, s62
	s_mul_hi_u32 s66, s61, s64
	s_mul_i32 s64, s61, s64
	s_add_u32 s63, s63, s64
	s_mul_hi_u32 s65, s61, s1
	s_addc_u32 s62, s62, s66
	s_addc_u32 s63, s65, 0
	s_mul_i32 s1, s61, s1
	s_add_u32 s1, s62, s1
	s_addc_u32 s62, 0, s63
	s_add_u32 s63, s0, s1
	s_cselect_b64 s[0:1], -1, 0
	s_cmp_lg_u64 s[0:1], 0
	s_addc_u32 s61, s61, s62
	s_mul_i32 s0, s2, s61
	s_mul_hi_u32 s1, s2, s63
	s_add_i32 s0, s1, s0
	s_mul_i32 s3, s3, s63
	s_add_i32 s0, s0, s3
	s_mul_i32 s2, s2, s63
	s_mul_hi_u32 s3, s61, s2
	s_mul_i32 s62, s61, s2
	s_mul_i32 s65, s63, s0
	s_mul_hi_u32 s2, s63, s2
	s_mul_hi_u32 s64, s63, s0
	s_add_u32 s2, s2, s65
	s_addc_u32 s64, 0, s64
	s_add_u32 s2, s2, s62
	s_mul_hi_u32 s1, s61, s0
	s_addc_u32 s2, s64, s3
	s_addc_u32 s1, s1, 0
	s_mul_i32 s0, s61, s0
	s_add_u32 s0, s2, s0
	s_addc_u32 s2, 0, s1
	s_add_u32 s3, s63, s0
	s_cselect_b64 s[0:1], -1, 0
	v_ashrrev_i32_e32 v3, 31, v7
	s_cmp_lg_u64 s[0:1], 0
	v_add_co_u32_e32 v8, vcc, v6, v3
	s_addc_u32 s2, s61, s2
	v_xor_b32_e32 v13, v8, v3
	v_mad_u64_u32 v[8:9], s[0:1], v13, s2, 0
	v_mul_hi_u32 v12, v13, s3
	v_addc_co_u32_e32 v11, vcc, v7, v3, vcc
	v_xor_b32_e32 v16, v11, v3
	v_add_co_u32_e32 v17, vcc, v12, v8
	v_addc_co_u32_e32 v18, vcc, 0, v9, vcc
	v_mad_u64_u32 v[8:9], s[0:1], v16, s3, 0
	v_mad_u64_u32 v[11:12], s[0:1], v16, s2, 0
	v_add_co_u32_e32 v8, vcc, v17, v8
	v_addc_co_u32_e32 v8, vcc, v18, v9, vcc
	v_addc_co_u32_e32 v9, vcc, 0, v12, vcc
	v_add_co_u32_e32 v8, vcc, v8, v11
	v_addc_co_u32_e32 v9, vcc, 0, v9, vcc
	v_mul_lo_u32 v11, s57, v8
	v_mul_lo_u32 v12, s56, v9
	v_mad_u64_u32 v[8:9], s[0:1], s56, v8, 0
	v_add3_u32 v9, v9, v12, v11
	v_sub_u32_e32 v11, v16, v9
	v_mov_b32_e32 v12, s57
	v_sub_co_u32_e32 v8, vcc, v13, v8
	v_subb_co_u32_e64 v11, s[0:1], v11, v12, vcc
	v_subrev_co_u32_e64 v13, s[0:1], s56, v8
	v_subbrev_co_u32_e64 v17, s[2:3], 0, v11, s[0:1]
	v_cmp_le_u32_e64 s[2:3], s57, v17
	v_cndmask_b32_e64 v18, 0, -1, s[2:3]
	v_cmp_le_u32_e64 s[2:3], s56, v13
	v_subb_co_u32_e64 v11, s[0:1], v11, v12, s[0:1]
	v_cndmask_b32_e64 v19, 0, -1, s[2:3]
	v_cmp_eq_u32_e64 s[2:3], s57, v17
	v_subrev_co_u32_e64 v12, s[0:1], s56, v13
	v_subb_co_u32_e32 v9, vcc, v16, v9, vcc
	v_cndmask_b32_e64 v18, v18, v19, s[2:3]
	v_subbrev_co_u32_e64 v11, s[0:1], 0, v11, s[0:1]
	v_cmp_le_u32_e32 vcc, s57, v9
	v_cmp_ne_u32_e64 s[0:1], 0, v18
	v_cndmask_b32_e64 v16, 0, -1, vcc
	v_cmp_le_u32_e32 vcc, s56, v8
	v_cndmask_b32_e64 v11, v17, v11, s[0:1]
	v_cndmask_b32_e64 v17, 0, -1, vcc
	v_cmp_eq_u32_e32 vcc, s57, v9
	v_cndmask_b32_e32 v16, v16, v17, vcc
	v_cmp_ne_u32_e32 vcc, 0, v16
	v_cndmask_b32_e32 v9, v9, v11, vcc
	v_cndmask_b32_e64 v11, v13, v12, s[0:1]
	v_cndmask_b32_e32 v8, v8, v11, vcc
	v_xor_b32_e32 v8, v8, v3
	v_xor_b32_e32 v9, v9, v3
	v_sub_co_u32_e32 v8, vcc, v8, v3
	v_subb_co_u32_e32 v9, vcc, v9, v3, vcc
.LBB16_9:                               ;   in Loop: Header=BB16_3 Depth=1
	s_andn2_saveexec_b64 s[0:1], s[54:55]
	s_cbranch_execz .LBB16_11
; %bb.10:                               ;   in Loop: Header=BB16_3 Depth=1
	v_cvt_f32_u32_e32 v3, s42
	s_sub_i32 s2, 0, s42
	v_mov_b32_e32 v9, v2
	v_rcp_iflag_f32_e32 v3, v3
	v_mul_f32_e32 v3, 0x4f7ffffe, v3
	v_cvt_u32_f32_e32 v3, v3
	v_mul_lo_u32 v8, s2, v3
	v_mul_hi_u32 v8, v3, v8
	v_add_u32_e32 v3, v3, v8
	v_mul_hi_u32 v3, v6, v3
	v_mul_lo_u32 v3, v3, s42
	v_sub_u32_e32 v3, v6, v3
	v_subrev_u32_e32 v8, s42, v3
	v_cmp_le_u32_e32 vcc, s42, v3
	v_cndmask_b32_e32 v3, v3, v8, vcc
	v_subrev_u32_e32 v8, s42, v3
	v_cmp_le_u32_e32 vcc, s42, v3
	v_cndmask_b32_e32 v8, v3, v8, vcc
.LBB16_11:                              ;   in Loop: Header=BB16_3 Depth=1
	s_or_b64 exec, exec, s[0:1]
	v_or_b32_e32 v3, s33, v14
	v_cmp_ne_u64_e32 vcc, 0, v[2:3]
                                        ; implicit-def: $vgpr12_vgpr13
	s_and_saveexec_b64 s[0:1], vcc
	s_xor_b64 s[2:3], exec, s[0:1]
	s_cbranch_execz .LBB16_13
; %bb.12:                               ;   in Loop: Header=BB16_3 Depth=1
	s_ashr_i32 s54, s33, 31
	s_add_u32 s0, s58, s54
	s_mov_b32 s55, s54
	s_addc_u32 s1, s33, s54
	s_xor_b64 s[56:57], s[0:1], s[54:55]
	v_cvt_f32_u32_e32 v3, s56
	v_cvt_f32_u32_e32 v11, s57
	s_sub_u32 s55, 0, s56
	s_subb_u32 s61, 0, s57
	v_mac_f32_e32 v3, 0x4f800000, v11
	v_rcp_f32_e32 v3, v3
	v_mul_f32_e32 v3, 0x5f7ffffc, v3
	v_mul_f32_e32 v11, 0x2f800000, v3
	v_trunc_f32_e32 v11, v11
	v_mac_f32_e32 v3, 0xcf800000, v11
	v_cvt_u32_f32_e32 v11, v11
	v_cvt_u32_f32_e32 v3, v3
	v_readfirstlane_b32 s62, v11
	v_readfirstlane_b32 s0, v3
	s_mul_i32 s1, s55, s62
	s_mul_hi_u32 s64, s55, s0
	s_mul_i32 s63, s61, s0
	s_add_i32 s1, s64, s1
	s_add_i32 s1, s1, s63
	s_mul_i32 s65, s55, s0
	s_mul_i32 s64, s0, s1
	s_mul_hi_u32 s66, s0, s65
	s_mul_hi_u32 s63, s0, s1
	s_add_u32 s64, s66, s64
	s_addc_u32 s63, 0, s63
	s_mul_hi_u32 s67, s62, s65
	s_mul_i32 s65, s62, s65
	s_add_u32 s64, s64, s65
	s_mul_hi_u32 s66, s62, s1
	s_addc_u32 s63, s63, s67
	s_addc_u32 s64, s66, 0
	s_mul_i32 s1, s62, s1
	s_add_u32 s1, s63, s1
	s_addc_u32 s63, 0, s64
	s_add_u32 s64, s0, s1
	s_cselect_b64 s[0:1], -1, 0
	s_cmp_lg_u64 s[0:1], 0
	s_addc_u32 s62, s62, s63
	s_mul_i32 s0, s55, s62
	s_mul_hi_u32 s1, s55, s64
	s_add_i32 s0, s1, s0
	s_mul_i32 s61, s61, s64
	s_add_i32 s0, s0, s61
	s_mul_i32 s55, s55, s64
	s_mul_hi_u32 s61, s62, s55
	s_mul_i32 s63, s62, s55
	s_mul_i32 s66, s64, s0
	s_mul_hi_u32 s55, s64, s55
	s_mul_hi_u32 s65, s64, s0
	s_add_u32 s55, s55, s66
	s_addc_u32 s65, 0, s65
	s_add_u32 s55, s55, s63
	s_mul_hi_u32 s1, s62, s0
	s_addc_u32 s55, s65, s61
	s_addc_u32 s1, s1, 0
	s_mul_i32 s0, s62, s0
	s_add_u32 s0, s55, s0
	s_addc_u32 s55, 0, s1
	s_add_u32 s61, s64, s0
	s_cselect_b64 s[0:1], -1, 0
	s_cmp_lg_u64 s[0:1], 0
	v_add_co_u32_e32 v3, vcc, v15, v10
	s_addc_u32 s55, s62, s55
	v_xor_b32_e32 v3, v3, v10
	v_mad_u64_u32 v[11:12], s[0:1], v3, s55, 0
	v_mul_hi_u32 v16, v3, s61
	v_addc_co_u32_e32 v13, vcc, v14, v10, vcc
	v_xor_b32_e32 v13, v13, v10
	v_add_co_u32_e32 v18, vcc, v16, v11
	v_addc_co_u32_e32 v19, vcc, 0, v12, vcc
	v_mad_u64_u32 v[11:12], s[0:1], v13, s61, 0
	v_mad_u64_u32 v[16:17], s[0:1], v13, s55, 0
	v_add_co_u32_e32 v11, vcc, v18, v11
	v_addc_co_u32_e32 v11, vcc, v19, v12, vcc
	v_addc_co_u32_e32 v12, vcc, 0, v17, vcc
	v_add_co_u32_e32 v16, vcc, v11, v16
	v_addc_co_u32_e32 v17, vcc, 0, v12, vcc
	v_mul_lo_u32 v18, s57, v16
	v_mul_lo_u32 v19, s56, v17
	v_mad_u64_u32 v[11:12], s[0:1], s56, v16, 0
	v_xor_b32_e32 v10, s54, v10
	v_add3_u32 v12, v12, v19, v18
	v_sub_u32_e32 v18, v13, v12
	v_mov_b32_e32 v19, s57
	v_sub_co_u32_e32 v3, vcc, v3, v11
	v_subb_co_u32_e64 v11, s[0:1], v18, v19, vcc
	v_subrev_co_u32_e64 v18, s[0:1], s56, v3
	v_subbrev_co_u32_e64 v11, s[0:1], 0, v11, s[0:1]
	v_cmp_le_u32_e64 s[0:1], s57, v11
	v_cndmask_b32_e64 v19, 0, -1, s[0:1]
	v_cmp_le_u32_e64 s[0:1], s56, v18
	v_cndmask_b32_e64 v18, 0, -1, s[0:1]
	v_cmp_eq_u32_e64 s[0:1], s57, v11
	v_cndmask_b32_e64 v11, v19, v18, s[0:1]
	v_add_co_u32_e64 v18, s[0:1], 2, v16
	v_subb_co_u32_e32 v12, vcc, v13, v12, vcc
	v_addc_co_u32_e64 v19, s[0:1], 0, v17, s[0:1]
	v_cmp_le_u32_e32 vcc, s57, v12
	v_add_co_u32_e64 v20, s[0:1], 1, v16
	v_cndmask_b32_e64 v13, 0, -1, vcc
	v_cmp_le_u32_e32 vcc, s56, v3
	v_addc_co_u32_e64 v21, s[0:1], 0, v17, s[0:1]
	v_cndmask_b32_e64 v3, 0, -1, vcc
	v_cmp_eq_u32_e32 vcc, s57, v12
	v_cmp_ne_u32_e64 s[0:1], 0, v11
	v_cndmask_b32_e32 v3, v13, v3, vcc
	v_cndmask_b32_e64 v11, v21, v19, s[0:1]
	v_cmp_ne_u32_e32 vcc, 0, v3
	v_cndmask_b32_e32 v3, v17, v11, vcc
	v_cndmask_b32_e64 v11, v20, v18, s[0:1]
	v_cndmask_b32_e32 v11, v16, v11, vcc
	v_xor_b32_e32 v11, v11, v10
	v_xor_b32_e32 v3, v3, v10
	v_sub_co_u32_e32 v12, vcc, v11, v10
	v_subb_co_u32_e32 v13, vcc, v3, v10, vcc
.LBB16_13:                              ;   in Loop: Header=BB16_3 Depth=1
	s_andn2_saveexec_b64 s[0:1], s[2:3]
	s_cbranch_execz .LBB16_15
; %bb.14:                               ;   in Loop: Header=BB16_3 Depth=1
	v_cvt_f32_u32_e32 v3, s58
	s_sub_i32 s2, 0, s58
	v_mov_b32_e32 v13, v2
	v_rcp_iflag_f32_e32 v3, v3
	v_mul_f32_e32 v3, 0x4f7ffffe, v3
	v_cvt_u32_f32_e32 v3, v3
	v_mul_lo_u32 v10, s2, v3
	v_mul_hi_u32 v10, v3, v10
	v_add_u32_e32 v3, v3, v10
	v_mul_hi_u32 v3, v5, v3
	v_mul_lo_u32 v10, v3, s58
	v_add_u32_e32 v11, 1, v3
	v_sub_u32_e32 v10, v5, v10
	v_subrev_u32_e32 v12, s58, v10
	v_cmp_le_u32_e32 vcc, s58, v10
	v_cndmask_b32_e32 v10, v10, v12, vcc
	v_cndmask_b32_e32 v3, v3, v11, vcc
	v_add_u32_e32 v11, 1, v3
	v_cmp_le_u32_e32 vcc, s58, v10
	v_cndmask_b32_e32 v12, v3, v11, vcc
.LBB16_15:                              ;   in Loop: Header=BB16_3 Depth=1
	s_or_b64 exec, exec, s[0:1]
	v_or_b32_e32 v3, s45, v13
	v_cmp_ne_u64_e32 vcc, 0, v[2:3]
                                        ; implicit-def: $vgpr10_vgpr11
	s_and_saveexec_b64 s[0:1], vcc
	s_xor_b64 s[54:55], exec, s[0:1]
	s_cbranch_execz .LBB16_17
; %bb.16:                               ;   in Loop: Header=BB16_3 Depth=1
	s_ashr_i32 s0, s45, 31
	s_add_u32 s2, s44, s0
	s_mov_b32 s1, s0
	s_addc_u32 s3, s45, s0
	s_xor_b64 s[56:57], s[2:3], s[0:1]
	v_cvt_f32_u32_e32 v3, s56
	v_cvt_f32_u32_e32 v10, s57
	s_sub_u32 s2, 0, s56
	s_subb_u32 s3, 0, s57
	v_mac_f32_e32 v3, 0x4f800000, v10
	v_rcp_f32_e32 v3, v3
	v_mul_f32_e32 v3, 0x5f7ffffc, v3
	v_mul_f32_e32 v10, 0x2f800000, v3
	v_trunc_f32_e32 v10, v10
	v_mac_f32_e32 v3, 0xcf800000, v10
	v_cvt_u32_f32_e32 v10, v10
	v_cvt_u32_f32_e32 v3, v3
	v_readfirstlane_b32 s61, v10
	v_readfirstlane_b32 s0, v3
	s_mul_i32 s1, s2, s61
	s_mul_hi_u32 s63, s2, s0
	s_mul_i32 s62, s3, s0
	s_add_i32 s1, s63, s1
	s_add_i32 s1, s1, s62
	s_mul_i32 s64, s2, s0
	s_mul_i32 s63, s0, s1
	s_mul_hi_u32 s65, s0, s64
	s_mul_hi_u32 s62, s0, s1
	s_add_u32 s63, s65, s63
	s_addc_u32 s62, 0, s62
	s_mul_hi_u32 s66, s61, s64
	s_mul_i32 s64, s61, s64
	s_add_u32 s63, s63, s64
	s_mul_hi_u32 s65, s61, s1
	s_addc_u32 s62, s62, s66
	s_addc_u32 s63, s65, 0
	s_mul_i32 s1, s61, s1
	s_add_u32 s1, s62, s1
	s_addc_u32 s62, 0, s63
	s_add_u32 s63, s0, s1
	s_cselect_b64 s[0:1], -1, 0
	s_cmp_lg_u64 s[0:1], 0
	s_addc_u32 s61, s61, s62
	s_mul_i32 s0, s2, s61
	s_mul_hi_u32 s1, s2, s63
	s_add_i32 s0, s1, s0
	s_mul_i32 s3, s3, s63
	s_add_i32 s0, s0, s3
	s_mul_i32 s2, s2, s63
	s_mul_hi_u32 s3, s61, s2
	s_mul_i32 s62, s61, s2
	s_mul_i32 s65, s63, s0
	s_mul_hi_u32 s2, s63, s2
	s_mul_hi_u32 s64, s63, s0
	s_add_u32 s2, s2, s65
	s_addc_u32 s64, 0, s64
	s_add_u32 s2, s2, s62
	s_mul_hi_u32 s1, s61, s0
	s_addc_u32 s2, s64, s3
	s_addc_u32 s1, s1, 0
	s_mul_i32 s0, s61, s0
	s_add_u32 s0, s2, s0
	s_addc_u32 s2, 0, s1
	s_add_u32 s3, s63, s0
	s_cselect_b64 s[0:1], -1, 0
	v_ashrrev_i32_e32 v3, 31, v13
	s_cmp_lg_u64 s[0:1], 0
	v_add_co_u32_e32 v10, vcc, v12, v3
	s_addc_u32 s2, s61, s2
	v_xor_b32_e32 v16, v10, v3
	v_addc_co_u32_e32 v12, vcc, v13, v3, vcc
	v_mad_u64_u32 v[10:11], s[0:1], v16, s2, 0
	v_mul_hi_u32 v13, v16, s3
	v_xor_b32_e32 v17, v12, v3
	v_add_co_u32_e32 v18, vcc, v13, v10
	v_addc_co_u32_e32 v19, vcc, 0, v11, vcc
	v_mad_u64_u32 v[10:11], s[0:1], v17, s3, 0
	v_mad_u64_u32 v[12:13], s[0:1], v17, s2, 0
	v_add_co_u32_e32 v10, vcc, v18, v10
	v_addc_co_u32_e32 v10, vcc, v19, v11, vcc
	v_addc_co_u32_e32 v11, vcc, 0, v13, vcc
	v_add_co_u32_e32 v10, vcc, v10, v12
	v_addc_co_u32_e32 v11, vcc, 0, v11, vcc
	v_mul_lo_u32 v12, s57, v10
	v_mul_lo_u32 v13, s56, v11
	v_mad_u64_u32 v[10:11], s[0:1], s56, v10, 0
	v_add3_u32 v11, v11, v13, v12
	v_sub_u32_e32 v12, v17, v11
	v_mov_b32_e32 v13, s57
	v_sub_co_u32_e32 v10, vcc, v16, v10
	v_subb_co_u32_e64 v12, s[0:1], v12, v13, vcc
	v_subrev_co_u32_e64 v16, s[0:1], s56, v10
	v_subbrev_co_u32_e64 v18, s[2:3], 0, v12, s[0:1]
	v_cmp_le_u32_e64 s[2:3], s57, v18
	v_cndmask_b32_e64 v19, 0, -1, s[2:3]
	v_cmp_le_u32_e64 s[2:3], s56, v16
	v_subb_co_u32_e64 v12, s[0:1], v12, v13, s[0:1]
	v_cndmask_b32_e64 v20, 0, -1, s[2:3]
	v_cmp_eq_u32_e64 s[2:3], s57, v18
	v_subrev_co_u32_e64 v13, s[0:1], s56, v16
	v_subb_co_u32_e32 v11, vcc, v17, v11, vcc
	v_cndmask_b32_e64 v19, v19, v20, s[2:3]
	v_subbrev_co_u32_e64 v12, s[0:1], 0, v12, s[0:1]
	v_cmp_le_u32_e32 vcc, s57, v11
	v_cmp_ne_u32_e64 s[0:1], 0, v19
	v_cndmask_b32_e64 v17, 0, -1, vcc
	v_cmp_le_u32_e32 vcc, s56, v10
	v_cndmask_b32_e64 v12, v18, v12, s[0:1]
	v_cndmask_b32_e64 v18, 0, -1, vcc
	v_cmp_eq_u32_e32 vcc, s57, v11
	v_cndmask_b32_e32 v17, v17, v18, vcc
	v_cmp_ne_u32_e32 vcc, 0, v17
	v_cndmask_b32_e32 v11, v11, v12, vcc
	v_cndmask_b32_e64 v12, v16, v13, s[0:1]
	v_cndmask_b32_e32 v10, v10, v12, vcc
	v_xor_b32_e32 v10, v10, v3
	v_xor_b32_e32 v11, v11, v3
	v_sub_co_u32_e32 v10, vcc, v10, v3
	v_subb_co_u32_e32 v11, vcc, v11, v3, vcc
                                        ; implicit-def: $vgpr12_vgpr13
.LBB16_17:                              ;   in Loop: Header=BB16_3 Depth=1
	s_andn2_saveexec_b64 s[0:1], s[54:55]
	s_cbranch_execz .LBB16_19
; %bb.18:                               ;   in Loop: Header=BB16_3 Depth=1
	v_cvt_f32_u32_e32 v3, s44
	s_sub_i32 s2, 0, s44
	v_mov_b32_e32 v11, v2
	v_rcp_iflag_f32_e32 v3, v3
	v_mul_f32_e32 v3, 0x4f7ffffe, v3
	v_cvt_u32_f32_e32 v3, v3
	v_mul_lo_u32 v10, s2, v3
	v_mul_hi_u32 v10, v3, v10
	v_add_u32_e32 v3, v3, v10
	v_mul_hi_u32 v3, v12, v3
	v_mul_lo_u32 v3, v3, s44
	v_sub_u32_e32 v3, v12, v3
	v_subrev_u32_e32 v10, s44, v3
	v_cmp_le_u32_e32 vcc, s44, v3
	v_cndmask_b32_e32 v3, v3, v10, vcc
	v_subrev_u32_e32 v10, s44, v3
	v_cmp_le_u32_e32 vcc, s44, v3
	v_cndmask_b32_e32 v10, v3, v10, vcc
.LBB16_19:                              ;   in Loop: Header=BB16_3 Depth=1
	s_or_b64 exec, exec, s[0:1]
	v_mul_lo_u32 v3, v7, s40
	v_mul_lo_u32 v12, v6, s41
	v_mad_u64_u32 v[6:7], s[0:1], v6, s40, 0
	v_mul_lo_u32 v16, s11, v8
	v_mul_lo_u32 v17, s10, v9
	v_add3_u32 v7, v7, v12, v3
	v_sub_co_u32_e32 v3, vcc, v15, v6
	v_subb_co_u32_e32 v14, vcc, v14, v7, vcc
	v_mul_lo_u32 v12, s9, v3
	v_mul_lo_u32 v13, s8, v14
	v_mad_u64_u32 v[6:7], s[0:1], s8, v3, 0
	v_mov_b32_e32 v15, s7
	s_mov_b64 s[2:3], -1
	v_add3_u32 v7, v7, v13, v12
	v_mad_u64_u32 v[12:13], s[0:1], s10, v8, 0
	v_lshlrev_b64 v[6:7], 3, v[6:7]
	s_mov_b64 s[56:57], -1
	v_add_co_u32_e32 v18, vcc, s6, v6
	v_add3_u32 v13, v13, v17, v16
	v_addc_co_u32_e32 v15, vcc, v15, v7, vcc
	v_lshlrev_b64 v[6:7], 3, v[12:13]
	v_mul_lo_u32 v16, s13, v10
	v_mul_lo_u32 v17, s12, v11
	v_mad_u64_u32 v[12:13], s[0:1], s12, v10, 0
	v_add_co_u32_e32 v18, vcc, v18, v6
	v_add3_u32 v13, v13, v17, v16
	v_addc_co_u32_e32 v15, vcc, v15, v7, vcc
	v_lshlrev_b64 v[6:7], 3, v[12:13]
	v_add_co_u32_e32 v6, vcc, v18, v6
	v_addc_co_u32_e32 v7, vcc, v15, v7, vcc
	global_load_dwordx2 v[6:7], v[6:7], off
	s_waitcnt vmcnt(0)
	v_cmp_ne_u64_e32 vcc, s[38:39], v[6:7]
	s_and_saveexec_b64 s[54:55], vcc
	s_cbranch_execz .LBB16_26
; %bb.20:                               ;   in Loop: Header=BB16_3 Depth=1
	v_cmp_lt_i64_e32 vcc, -1, v[6:7]
	v_cmp_gt_i64_e64 s[0:1], s[46:47], v[6:7]
	s_mov_b64 s[56:57], 0
	s_and_b64 s[62:63], vcc, s[0:1]
	s_and_saveexec_b64 s[0:1], s[62:63]
	s_cbranch_execz .LBB16_25
; %bb.21:                               ;   in Loop: Header=BB16_3 Depth=1
	s_andn2_b64 vcc, exec, s[50:51]
	s_cbranch_vccnz .LBB16_23
; %bb.22:                               ;   in Loop: Header=BB16_3 Depth=1
	v_lshlrev_b64 v[12:13], 3, v[6:7]
	v_mov_b32_e32 v15, s37
	v_add_co_u32_e32 v12, vcc, s36, v12
	v_addc_co_u32_e32 v13, vcc, v15, v13, vcc
	global_load_dwordx2 v[12:13], v[12:13], off
	s_branch .LBB16_24
.LBB16_23:                              ;   in Loop: Header=BB16_3 Depth=1
	v_mov_b32_e32 v12, 0
	v_mov_b32_e32 v13, 0x3ff00000
.LBB16_24:                              ;   in Loop: Header=BB16_3 Depth=1
	s_waitcnt lgkmcnt(0)
	v_mul_lo_u32 v17, s17, v3
	v_mul_lo_u32 v18, s16, v14
	v_mad_u64_u32 v[15:16], s[62:63], s16, v3, 0
	v_mul_lo_u32 v19, s19, v8
	v_mul_lo_u32 v20, s18, v9
	v_add3_u32 v16, v16, v18, v17
	v_lshlrev_b64 v[15:16], 3, v[15:16]
	v_mov_b32_e32 v17, s15
	v_add_co_u32_e32 v18, vcc, s14, v15
	v_addc_co_u32_e32 v17, vcc, v17, v16, vcc
	v_mad_u64_u32 v[15:16], s[62:63], s18, v8, 0
	v_mul_lo_u32 v14, s24, v14
	s_mov_b64 s[56:57], exec
	v_add3_u32 v16, v16, v20, v19
	v_lshlrev_b64 v[15:16], 3, v[15:16]
	v_mul_lo_u32 v19, s21, v10
	v_add_co_u32_e32 v18, vcc, v18, v15
	v_addc_co_u32_e32 v17, vcc, v17, v16, vcc
	v_mul_lo_u32 v20, s20, v11
	v_mad_u64_u32 v[15:16], s[62:63], s20, v10, 0
	v_add3_u32 v16, v16, v20, v19
	v_lshlrev_b64 v[15:16], 3, v[15:16]
	v_mul_lo_u32 v19, s25, v3
	v_add_co_u32_e32 v15, vcc, v18, v15
	v_addc_co_u32_e32 v16, vcc, v17, v16, vcc
	v_mad_u64_u32 v[17:18], s[62:63], s24, v3, 0
	v_mul_lo_u32 v3, s27, v6
	v_add3_u32 v18, v18, v14, v19
	v_mul_lo_u32 v14, s26, v7
	v_mad_u64_u32 v[6:7], s[62:63], s26, v6, 0
	v_lshlrev_b64 v[17:18], 3, v[17:18]
	v_add3_u32 v7, v7, v14, v3
	v_mul_lo_u32 v3, s29, v8
	v_mul_lo_u32 v14, s28, v9
	v_mad_u64_u32 v[8:9], s[62:63], s28, v8, 0
	v_add_co_u32_e32 v17, vcc, s22, v17
	v_add3_u32 v9, v9, v14, v3
	global_load_dwordx2 v[14:15], v[15:16], off
	v_mov_b32_e32 v3, s23
	v_lshlrev_b64 v[6:7], 3, v[6:7]
	v_addc_co_u32_e32 v3, vcc, v3, v18, vcc
	v_add_co_u32_e32 v17, vcc, v17, v6
	v_mul_lo_u32 v16, s31, v10
	v_addc_co_u32_e32 v3, vcc, v3, v7, vcc
	v_mul_lo_u32 v18, s30, v11
	v_mad_u64_u32 v[6:7], s[62:63], s30, v10, 0
	v_lshlrev_b64 v[8:9], 3, v[8:9]
	v_add3_u32 v7, v7, v18, v16
	v_add_co_u32_e32 v8, vcc, v17, v8
	v_lshlrev_b64 v[6:7], 3, v[6:7]
	v_addc_co_u32_e32 v3, vcc, v3, v9, vcc
	v_add_co_u32_e32 v6, vcc, v8, v6
	v_addc_co_u32_e32 v7, vcc, v3, v7, vcc
	s_waitcnt vmcnt(0)
	v_mul_f64 v[10:11], v[14:15], -v[12:13]
	global_store_dwordx2 v[6:7], v[10:11], off
.LBB16_25:                              ;   in Loop: Header=BB16_3 Depth=1
	s_or_b64 exec, exec, s[0:1]
	s_orn2_b64 s[56:57], s[56:57], exec
.LBB16_26:                              ;   in Loop: Header=BB16_3 Depth=1
	s_or_b64 exec, exec, s[54:55]
	s_or_b64 s[52:53], s[52:53], exec
	s_and_saveexec_b64 s[0:1], s[56:57]
	s_cbranch_execz .LBB16_2
; %bb.27:                               ;   in Loop: Header=BB16_3 Depth=1
	v_add_co_u32_e32 v0, vcc, s59, v0
	v_addc_co_u32_e32 v1, vcc, 0, v1, vcc
	v_mov_b32_e32 v3, s60
	v_add_co_u32_e32 v4, vcc, 0, v4
	v_addc_co_u32_e32 v5, vcc, v5, v3, vcc
	v_cmp_le_i64_e32 vcc, s[34:35], v[0:1]
	s_andn2_b64 s[52:53], s[52:53], exec
	s_orn2_b64 s[2:3], vcc, exec
	s_branch .LBB16_2
.LBB16_28:
	s_or_b64 exec, exec, s[48:49]
	s_and_saveexec_b64 s[0:1], s[4:5]
	s_xor_b64 s[0:1], exec, s[0:1]
	s_cbranch_execnz .LBB16_30
.LBB16_29:
	s_endpgm
.LBB16_30:
	s_trap 2
	; divergent unreachable
	s_endpgm
	.section	.rodata,"a",@progbits
	.p2align	6, 0x0
	.amdhsa_kernel _ZN2at6native12_GLOBAL__N_136nll_loss2d_backward_no_reduce_kernelIdEEvlN5torch10headeronly6detail27GenericPackedTensorAccessorINS5_14TensorAccessorIN3c108ArrayRefIlEElLm2ENS4_16DefaultPtrTraitsElEENS_6detail16IndexBoundsCheckILm3ElEElLm3ESB_lEENS6_INS7_ISA_T_Lm2ESB_lEESF_SH_Lm3ESB_lEENS6_INS7_ISA_SH_Lm3ESB_lEENSE_ILm4ElEESH_Lm4ESB_lEEPKSH_l
		.amdhsa_group_segment_fixed_size 0
		.amdhsa_private_segment_fixed_size 0
		.amdhsa_kernarg_size 464
		.amdhsa_user_sgpr_count 6
		.amdhsa_user_sgpr_private_segment_buffer 1
		.amdhsa_user_sgpr_dispatch_ptr 0
		.amdhsa_user_sgpr_queue_ptr 0
		.amdhsa_user_sgpr_kernarg_segment_ptr 1
		.amdhsa_user_sgpr_dispatch_id 0
		.amdhsa_user_sgpr_flat_scratch_init 0
		.amdhsa_user_sgpr_private_segment_size 0
		.amdhsa_uses_dynamic_stack 0
		.amdhsa_system_sgpr_private_segment_wavefront_offset 0
		.amdhsa_system_sgpr_workgroup_id_x 1
		.amdhsa_system_sgpr_workgroup_id_y 0
		.amdhsa_system_sgpr_workgroup_id_z 0
		.amdhsa_system_sgpr_workgroup_info 0
		.amdhsa_system_vgpr_workitem_id 0
		.amdhsa_next_free_vgpr 22
		.amdhsa_next_free_sgpr 68
		.amdhsa_reserve_vcc 1
		.amdhsa_reserve_flat_scratch 0
		.amdhsa_float_round_mode_32 0
		.amdhsa_float_round_mode_16_64 0
		.amdhsa_float_denorm_mode_32 3
		.amdhsa_float_denorm_mode_16_64 3
		.amdhsa_dx10_clamp 1
		.amdhsa_ieee_mode 1
		.amdhsa_fp16_overflow 0
		.amdhsa_exception_fp_ieee_invalid_op 0
		.amdhsa_exception_fp_denorm_src 0
		.amdhsa_exception_fp_ieee_div_zero 0
		.amdhsa_exception_fp_ieee_overflow 0
		.amdhsa_exception_fp_ieee_underflow 0
		.amdhsa_exception_fp_ieee_inexact 0
		.amdhsa_exception_int_div_zero 0
	.end_amdhsa_kernel
	.section	.text._ZN2at6native12_GLOBAL__N_136nll_loss2d_backward_no_reduce_kernelIdEEvlN5torch10headeronly6detail27GenericPackedTensorAccessorINS5_14TensorAccessorIN3c108ArrayRefIlEElLm2ENS4_16DefaultPtrTraitsElEENS_6detail16IndexBoundsCheckILm3ElEElLm3ESB_lEENS6_INS7_ISA_T_Lm2ESB_lEESF_SH_Lm3ESB_lEENS6_INS7_ISA_SH_Lm3ESB_lEENSE_ILm4ElEESH_Lm4ESB_lEEPKSH_l,"axG",@progbits,_ZN2at6native12_GLOBAL__N_136nll_loss2d_backward_no_reduce_kernelIdEEvlN5torch10headeronly6detail27GenericPackedTensorAccessorINS5_14TensorAccessorIN3c108ArrayRefIlEElLm2ENS4_16DefaultPtrTraitsElEENS_6detail16IndexBoundsCheckILm3ElEElLm3ESB_lEENS6_INS7_ISA_T_Lm2ESB_lEESF_SH_Lm3ESB_lEENS6_INS7_ISA_SH_Lm3ESB_lEENSE_ILm4ElEESH_Lm4ESB_lEEPKSH_l,comdat
.Lfunc_end16:
	.size	_ZN2at6native12_GLOBAL__N_136nll_loss2d_backward_no_reduce_kernelIdEEvlN5torch10headeronly6detail27GenericPackedTensorAccessorINS5_14TensorAccessorIN3c108ArrayRefIlEElLm2ENS4_16DefaultPtrTraitsElEENS_6detail16IndexBoundsCheckILm3ElEElLm3ESB_lEENS6_INS7_ISA_T_Lm2ESB_lEESF_SH_Lm3ESB_lEENS6_INS7_ISA_SH_Lm3ESB_lEENSE_ILm4ElEESH_Lm4ESB_lEEPKSH_l, .Lfunc_end16-_ZN2at6native12_GLOBAL__N_136nll_loss2d_backward_no_reduce_kernelIdEEvlN5torch10headeronly6detail27GenericPackedTensorAccessorINS5_14TensorAccessorIN3c108ArrayRefIlEElLm2ENS4_16DefaultPtrTraitsElEENS_6detail16IndexBoundsCheckILm3ElEElLm3ESB_lEENS6_INS7_ISA_T_Lm2ESB_lEESF_SH_Lm3ESB_lEENS6_INS7_ISA_SH_Lm3ESB_lEENSE_ILm4ElEESH_Lm4ESB_lEEPKSH_l
                                        ; -- End function
	.set _ZN2at6native12_GLOBAL__N_136nll_loss2d_backward_no_reduce_kernelIdEEvlN5torch10headeronly6detail27GenericPackedTensorAccessorINS5_14TensorAccessorIN3c108ArrayRefIlEElLm2ENS4_16DefaultPtrTraitsElEENS_6detail16IndexBoundsCheckILm3ElEElLm3ESB_lEENS6_INS7_ISA_T_Lm2ESB_lEESF_SH_Lm3ESB_lEENS6_INS7_ISA_SH_Lm3ESB_lEENSE_ILm4ElEESH_Lm4ESB_lEEPKSH_l.num_vgpr, 22
	.set _ZN2at6native12_GLOBAL__N_136nll_loss2d_backward_no_reduce_kernelIdEEvlN5torch10headeronly6detail27GenericPackedTensorAccessorINS5_14TensorAccessorIN3c108ArrayRefIlEElLm2ENS4_16DefaultPtrTraitsElEENS_6detail16IndexBoundsCheckILm3ElEElLm3ESB_lEENS6_INS7_ISA_T_Lm2ESB_lEESF_SH_Lm3ESB_lEENS6_INS7_ISA_SH_Lm3ESB_lEENSE_ILm4ElEESH_Lm4ESB_lEEPKSH_l.num_agpr, 0
	.set _ZN2at6native12_GLOBAL__N_136nll_loss2d_backward_no_reduce_kernelIdEEvlN5torch10headeronly6detail27GenericPackedTensorAccessorINS5_14TensorAccessorIN3c108ArrayRefIlEElLm2ENS4_16DefaultPtrTraitsElEENS_6detail16IndexBoundsCheckILm3ElEElLm3ESB_lEENS6_INS7_ISA_T_Lm2ESB_lEESF_SH_Lm3ESB_lEENS6_INS7_ISA_SH_Lm3ESB_lEENSE_ILm4ElEESH_Lm4ESB_lEEPKSH_l.numbered_sgpr, 68
	.set _ZN2at6native12_GLOBAL__N_136nll_loss2d_backward_no_reduce_kernelIdEEvlN5torch10headeronly6detail27GenericPackedTensorAccessorINS5_14TensorAccessorIN3c108ArrayRefIlEElLm2ENS4_16DefaultPtrTraitsElEENS_6detail16IndexBoundsCheckILm3ElEElLm3ESB_lEENS6_INS7_ISA_T_Lm2ESB_lEESF_SH_Lm3ESB_lEENS6_INS7_ISA_SH_Lm3ESB_lEENSE_ILm4ElEESH_Lm4ESB_lEEPKSH_l.num_named_barrier, 0
	.set _ZN2at6native12_GLOBAL__N_136nll_loss2d_backward_no_reduce_kernelIdEEvlN5torch10headeronly6detail27GenericPackedTensorAccessorINS5_14TensorAccessorIN3c108ArrayRefIlEElLm2ENS4_16DefaultPtrTraitsElEENS_6detail16IndexBoundsCheckILm3ElEElLm3ESB_lEENS6_INS7_ISA_T_Lm2ESB_lEESF_SH_Lm3ESB_lEENS6_INS7_ISA_SH_Lm3ESB_lEENSE_ILm4ElEESH_Lm4ESB_lEEPKSH_l.private_seg_size, 0
	.set _ZN2at6native12_GLOBAL__N_136nll_loss2d_backward_no_reduce_kernelIdEEvlN5torch10headeronly6detail27GenericPackedTensorAccessorINS5_14TensorAccessorIN3c108ArrayRefIlEElLm2ENS4_16DefaultPtrTraitsElEENS_6detail16IndexBoundsCheckILm3ElEElLm3ESB_lEENS6_INS7_ISA_T_Lm2ESB_lEESF_SH_Lm3ESB_lEENS6_INS7_ISA_SH_Lm3ESB_lEENSE_ILm4ElEESH_Lm4ESB_lEEPKSH_l.uses_vcc, 1
	.set _ZN2at6native12_GLOBAL__N_136nll_loss2d_backward_no_reduce_kernelIdEEvlN5torch10headeronly6detail27GenericPackedTensorAccessorINS5_14TensorAccessorIN3c108ArrayRefIlEElLm2ENS4_16DefaultPtrTraitsElEENS_6detail16IndexBoundsCheckILm3ElEElLm3ESB_lEENS6_INS7_ISA_T_Lm2ESB_lEESF_SH_Lm3ESB_lEENS6_INS7_ISA_SH_Lm3ESB_lEENSE_ILm4ElEESH_Lm4ESB_lEEPKSH_l.uses_flat_scratch, 0
	.set _ZN2at6native12_GLOBAL__N_136nll_loss2d_backward_no_reduce_kernelIdEEvlN5torch10headeronly6detail27GenericPackedTensorAccessorINS5_14TensorAccessorIN3c108ArrayRefIlEElLm2ENS4_16DefaultPtrTraitsElEENS_6detail16IndexBoundsCheckILm3ElEElLm3ESB_lEENS6_INS7_ISA_T_Lm2ESB_lEESF_SH_Lm3ESB_lEENS6_INS7_ISA_SH_Lm3ESB_lEENSE_ILm4ElEESH_Lm4ESB_lEEPKSH_l.has_dyn_sized_stack, 0
	.set _ZN2at6native12_GLOBAL__N_136nll_loss2d_backward_no_reduce_kernelIdEEvlN5torch10headeronly6detail27GenericPackedTensorAccessorINS5_14TensorAccessorIN3c108ArrayRefIlEElLm2ENS4_16DefaultPtrTraitsElEENS_6detail16IndexBoundsCheckILm3ElEElLm3ESB_lEENS6_INS7_ISA_T_Lm2ESB_lEESF_SH_Lm3ESB_lEENS6_INS7_ISA_SH_Lm3ESB_lEENSE_ILm4ElEESH_Lm4ESB_lEEPKSH_l.has_recursion, 0
	.set _ZN2at6native12_GLOBAL__N_136nll_loss2d_backward_no_reduce_kernelIdEEvlN5torch10headeronly6detail27GenericPackedTensorAccessorINS5_14TensorAccessorIN3c108ArrayRefIlEElLm2ENS4_16DefaultPtrTraitsElEENS_6detail16IndexBoundsCheckILm3ElEElLm3ESB_lEENS6_INS7_ISA_T_Lm2ESB_lEESF_SH_Lm3ESB_lEENS6_INS7_ISA_SH_Lm3ESB_lEENSE_ILm4ElEESH_Lm4ESB_lEEPKSH_l.has_indirect_call, 0
	.section	.AMDGPU.csdata,"",@progbits
; Kernel info:
; codeLenInByte = 3916
; TotalNumSgprs: 72
; NumVgprs: 22
; ScratchSize: 0
; MemoryBound: 0
; FloatMode: 240
; IeeeMode: 1
; LDSByteSize: 0 bytes/workgroup (compile time only)
; SGPRBlocks: 8
; VGPRBlocks: 5
; NumSGPRsForWavesPerEU: 72
; NumVGPRsForWavesPerEU: 22
; Occupancy: 10
; WaveLimiterHint : 1
; COMPUTE_PGM_RSRC2:SCRATCH_EN: 0
; COMPUTE_PGM_RSRC2:USER_SGPR: 6
; COMPUTE_PGM_RSRC2:TRAP_HANDLER: 0
; COMPUTE_PGM_RSRC2:TGID_X_EN: 1
; COMPUTE_PGM_RSRC2:TGID_Y_EN: 0
; COMPUTE_PGM_RSRC2:TGID_Z_EN: 0
; COMPUTE_PGM_RSRC2:TIDIG_COMP_CNT: 0
	.section	.text._ZN2at6native12_GLOBAL__N_136nll_loss2d_backward_no_reduce_kernelIfEEvlN5torch10headeronly6detail27GenericPackedTensorAccessorINS5_14TensorAccessorIN3c108ArrayRefIlEElLm2ENS4_16DefaultPtrTraitsElEENS_6detail16IndexBoundsCheckILm3ElEElLm3ESB_lEENS6_INS7_ISA_T_Lm2ESB_lEESF_SH_Lm3ESB_lEENS6_INS7_ISA_SH_Lm3ESB_lEENSE_ILm4ElEESH_Lm4ESB_lEEPKSH_l,"axG",@progbits,_ZN2at6native12_GLOBAL__N_136nll_loss2d_backward_no_reduce_kernelIfEEvlN5torch10headeronly6detail27GenericPackedTensorAccessorINS5_14TensorAccessorIN3c108ArrayRefIlEElLm2ENS4_16DefaultPtrTraitsElEENS_6detail16IndexBoundsCheckILm3ElEElLm3ESB_lEENS6_INS7_ISA_T_Lm2ESB_lEESF_SH_Lm3ESB_lEENS6_INS7_ISA_SH_Lm3ESB_lEENSE_ILm4ElEESH_Lm4ESB_lEEPKSH_l,comdat
	.globl	_ZN2at6native12_GLOBAL__N_136nll_loss2d_backward_no_reduce_kernelIfEEvlN5torch10headeronly6detail27GenericPackedTensorAccessorINS5_14TensorAccessorIN3c108ArrayRefIlEElLm2ENS4_16DefaultPtrTraitsElEENS_6detail16IndexBoundsCheckILm3ElEElLm3ESB_lEENS6_INS7_ISA_T_Lm2ESB_lEESF_SH_Lm3ESB_lEENS6_INS7_ISA_SH_Lm3ESB_lEENSE_ILm4ElEESH_Lm4ESB_lEEPKSH_l ; -- Begin function _ZN2at6native12_GLOBAL__N_136nll_loss2d_backward_no_reduce_kernelIfEEvlN5torch10headeronly6detail27GenericPackedTensorAccessorINS5_14TensorAccessorIN3c108ArrayRefIlEElLm2ENS4_16DefaultPtrTraitsElEENS_6detail16IndexBoundsCheckILm3ElEElLm3ESB_lEENS6_INS7_ISA_T_Lm2ESB_lEESF_SH_Lm3ESB_lEENS6_INS7_ISA_SH_Lm3ESB_lEENSE_ILm4ElEESH_Lm4ESB_lEEPKSH_l
	.p2align	8
	.type	_ZN2at6native12_GLOBAL__N_136nll_loss2d_backward_no_reduce_kernelIfEEvlN5torch10headeronly6detail27GenericPackedTensorAccessorINS5_14TensorAccessorIN3c108ArrayRefIlEElLm2ENS4_16DefaultPtrTraitsElEENS_6detail16IndexBoundsCheckILm3ElEElLm3ESB_lEENS6_INS7_ISA_T_Lm2ESB_lEESF_SH_Lm3ESB_lEENS6_INS7_ISA_SH_Lm3ESB_lEENSE_ILm4ElEESH_Lm4ESB_lEEPKSH_l,@function
_ZN2at6native12_GLOBAL__N_136nll_loss2d_backward_no_reduce_kernelIfEEvlN5torch10headeronly6detail27GenericPackedTensorAccessorINS5_14TensorAccessorIN3c108ArrayRefIlEElLm2ENS4_16DefaultPtrTraitsElEENS_6detail16IndexBoundsCheckILm3ElEElLm3ESB_lEENS6_INS7_ISA_T_Lm2ESB_lEESF_SH_Lm3ESB_lEENS6_INS7_ISA_SH_Lm3ESB_lEENSE_ILm4ElEESH_Lm4ESB_lEEPKSH_l: ; @_ZN2at6native12_GLOBAL__N_136nll_loss2d_backward_no_reduce_kernelIfEEvlN5torch10headeronly6detail27GenericPackedTensorAccessorINS5_14TensorAccessorIN3c108ArrayRefIlEElLm2ENS4_16DefaultPtrTraitsElEENS_6detail16IndexBoundsCheckILm3ElEElLm3ESB_lEENS6_INS7_ISA_T_Lm2ESB_lEESF_SH_Lm3ESB_lEENS6_INS7_ISA_SH_Lm3ESB_lEENSE_ILm4ElEESH_Lm4ESB_lEEPKSH_l
; %bb.0:
	s_load_dword s2, s[4:5], 0xdc
	s_load_dwordx2 s[34:35], s[4:5], 0x0
	s_add_u32 s0, s4, 0xd0
	v_mov_b32_e32 v2, 0
	s_addc_u32 s1, s5, 0
	s_waitcnt lgkmcnt(0)
	s_and_b32 s2, s2, 0xffff
	v_mov_b32_e32 v1, v2
	v_mov_b32_e32 v3, s6
	v_mad_u64_u32 v[0:1], s[6:7], s2, v3, v[0:1]
	v_cmp_gt_i64_e32 vcc, s[34:35], v[0:1]
	s_and_saveexec_b64 s[6:7], vcc
	s_cbranch_execz .LBB17_29
; %bb.1:
	s_load_dwordx4 s[36:39], s[4:5], 0xc0
	s_load_dwordx2 s[6:7], s[4:5], 0x8
	s_load_dwordx4 s[40:43], s[4:5], 0x10
	s_load_dwordx2 s[44:45], s[4:5], 0x20
	s_load_dwordx8 s[8:15], s[4:5], 0x28
	s_load_dwordx2 s[46:47], s[4:5], 0x88
	s_load_dword s3, s[0:1], 0x0
	s_waitcnt lgkmcnt(0)
	s_mul_i32 s0, s42, s41
	s_mul_hi_u32 s1, s42, s40
	s_load_dwordx8 s[16:23], s[4:5], 0x60
	s_load_dwordx8 s[24:31], s[4:5], 0xa0
	s_add_i32 s0, s1, s0
	s_mul_i32 s1, s43, s40
	s_add_i32 s33, s0, s1
	v_mov_b32_e32 v3, v0
	s_cmp_lg_u64 s[36:37], 0
	s_mul_i32 s59, s3, s2
	v_mov_b32_e32 v5, v3
	s_mul_i32 s58, s42, s40
	s_mov_b64 s[48:49], 0
	s_cselect_b64 s[50:51], -1, 0
	s_mov_b32 s60, s59
	v_mov_b32_e32 v4, v2
                                        ; implicit-def: $sgpr4_sgpr5
                                        ; implicit-def: $sgpr52_sgpr53
	s_branch .LBB17_3
.LBB17_2:                               ;   in Loop: Header=BB17_3 Depth=1
	s_or_b64 exec, exec, s[0:1]
	s_and_b64 s[0:1], exec, s[2:3]
	s_or_b64 s[48:49], s[0:1], s[48:49]
	s_andn2_b64 s[0:1], s[4:5], exec
	s_and_b64 s[2:3], s[52:53], exec
	s_or_b64 s[4:5], s[0:1], s[2:3]
	s_andn2_b64 exec, exec, s[48:49]
	s_cbranch_execz .LBB17_28
.LBB17_3:                               ; =>This Inner Loop Header: Depth=1
	v_ashrrev_i32_e32 v14, 31, v5
	v_or_b32_e32 v3, s41, v14
	v_cmp_ne_u64_e32 vcc, 0, v[2:3]
	v_mov_b32_e32 v15, v5
	v_ashrrev_i32_e32 v10, 31, v14
                                        ; implicit-def: $vgpr6_vgpr7
	s_and_saveexec_b64 s[0:1], vcc
	s_xor_b64 s[2:3], exec, s[0:1]
	s_cbranch_execz .LBB17_5
; %bb.4:                                ;   in Loop: Header=BB17_3 Depth=1
	s_ashr_i32 s54, s41, 31
	s_add_u32 s0, s40, s54
	s_mov_b32 s55, s54
	s_addc_u32 s1, s41, s54
	s_xor_b64 s[56:57], s[0:1], s[54:55]
	v_cvt_f32_u32_e32 v3, s56
	v_cvt_f32_u32_e32 v6, s57
	s_sub_u32 s55, 0, s56
	s_subb_u32 s61, 0, s57
	v_mac_f32_e32 v3, 0x4f800000, v6
	v_rcp_f32_e32 v3, v3
	v_mul_f32_e32 v3, 0x5f7ffffc, v3
	v_mul_f32_e32 v6, 0x2f800000, v3
	v_trunc_f32_e32 v6, v6
	v_mac_f32_e32 v3, 0xcf800000, v6
	v_cvt_u32_f32_e32 v6, v6
	v_cvt_u32_f32_e32 v3, v3
	v_readfirstlane_b32 s62, v6
	v_readfirstlane_b32 s0, v3
	s_mul_i32 s1, s55, s62
	s_mul_hi_u32 s64, s55, s0
	s_mul_i32 s63, s61, s0
	s_add_i32 s1, s64, s1
	s_add_i32 s1, s1, s63
	s_mul_i32 s65, s55, s0
	s_mul_i32 s64, s0, s1
	s_mul_hi_u32 s66, s0, s65
	s_mul_hi_u32 s63, s0, s1
	s_add_u32 s64, s66, s64
	s_addc_u32 s63, 0, s63
	s_mul_hi_u32 s67, s62, s65
	s_mul_i32 s65, s62, s65
	s_add_u32 s64, s64, s65
	s_mul_hi_u32 s66, s62, s1
	s_addc_u32 s63, s63, s67
	s_addc_u32 s64, s66, 0
	s_mul_i32 s1, s62, s1
	s_add_u32 s1, s63, s1
	s_addc_u32 s63, 0, s64
	s_add_u32 s64, s0, s1
	s_cselect_b64 s[0:1], -1, 0
	s_cmp_lg_u64 s[0:1], 0
	s_addc_u32 s62, s62, s63
	s_mul_i32 s0, s55, s62
	s_mul_hi_u32 s1, s55, s64
	s_add_i32 s0, s1, s0
	s_mul_i32 s61, s61, s64
	s_add_i32 s0, s0, s61
	s_mul_i32 s55, s55, s64
	s_mul_hi_u32 s61, s62, s55
	s_mul_i32 s63, s62, s55
	s_mul_i32 s66, s64, s0
	s_mul_hi_u32 s55, s64, s55
	s_mul_hi_u32 s65, s64, s0
	s_add_u32 s55, s55, s66
	s_addc_u32 s65, 0, s65
	s_add_u32 s55, s55, s63
	s_mul_hi_u32 s1, s62, s0
	s_addc_u32 s55, s65, s61
	s_addc_u32 s1, s1, 0
	s_mul_i32 s0, s62, s0
	s_add_u32 s0, s55, s0
	s_addc_u32 s55, 0, s1
	s_add_u32 s61, s64, s0
	s_cselect_b64 s[0:1], -1, 0
	s_cmp_lg_u64 s[0:1], 0
	v_add_co_u32_e32 v3, vcc, v15, v10
	s_addc_u32 s55, s62, s55
	v_xor_b32_e32 v3, v3, v10
	v_mad_u64_u32 v[6:7], s[0:1], v3, s55, 0
	v_mul_hi_u32 v9, v3, s61
	v_addc_co_u32_e32 v8, vcc, v14, v10, vcc
	v_xor_b32_e32 v11, v8, v10
	v_add_co_u32_e32 v12, vcc, v9, v6
	v_addc_co_u32_e32 v13, vcc, 0, v7, vcc
	v_mad_u64_u32 v[6:7], s[0:1], v11, s61, 0
	v_mad_u64_u32 v[8:9], s[0:1], v11, s55, 0
	v_add_co_u32_e32 v6, vcc, v12, v6
	v_addc_co_u32_e32 v6, vcc, v13, v7, vcc
	v_addc_co_u32_e32 v7, vcc, 0, v9, vcc
	v_add_co_u32_e32 v8, vcc, v6, v8
	v_addc_co_u32_e32 v9, vcc, 0, v7, vcc
	v_mul_lo_u32 v12, s57, v8
	v_mul_lo_u32 v13, s56, v9
	v_mad_u64_u32 v[6:7], s[0:1], s56, v8, 0
	v_add3_u32 v7, v7, v13, v12
	v_sub_u32_e32 v12, v11, v7
	v_mov_b32_e32 v13, s57
	v_sub_co_u32_e32 v3, vcc, v3, v6
	v_subb_co_u32_e64 v6, s[0:1], v12, v13, vcc
	v_subrev_co_u32_e64 v12, s[0:1], s56, v3
	v_subbrev_co_u32_e64 v6, s[0:1], 0, v6, s[0:1]
	v_cmp_le_u32_e64 s[0:1], s57, v6
	v_cndmask_b32_e64 v13, 0, -1, s[0:1]
	v_cmp_le_u32_e64 s[0:1], s56, v12
	v_cndmask_b32_e64 v12, 0, -1, s[0:1]
	v_cmp_eq_u32_e64 s[0:1], s57, v6
	v_cndmask_b32_e64 v6, v13, v12, s[0:1]
	v_add_co_u32_e64 v12, s[0:1], 2, v8
	v_subb_co_u32_e32 v7, vcc, v11, v7, vcc
	v_addc_co_u32_e64 v13, s[0:1], 0, v9, s[0:1]
	v_cmp_le_u32_e32 vcc, s57, v7
	v_add_co_u32_e64 v16, s[0:1], 1, v8
	v_cndmask_b32_e64 v11, 0, -1, vcc
	v_cmp_le_u32_e32 vcc, s56, v3
	v_addc_co_u32_e64 v17, s[0:1], 0, v9, s[0:1]
	v_cndmask_b32_e64 v3, 0, -1, vcc
	v_cmp_eq_u32_e32 vcc, s57, v7
	v_cmp_ne_u32_e64 s[0:1], 0, v6
	v_cndmask_b32_e32 v3, v11, v3, vcc
	v_cndmask_b32_e64 v6, v17, v13, s[0:1]
	v_cmp_ne_u32_e32 vcc, 0, v3
	v_cndmask_b32_e32 v3, v9, v6, vcc
	v_cndmask_b32_e64 v6, v16, v12, s[0:1]
	v_cndmask_b32_e32 v6, v8, v6, vcc
	v_xor_b32_e32 v7, s54, v10
	v_xor_b32_e32 v6, v6, v7
	;; [unrolled: 1-line block ×3, first 2 shown]
	v_sub_co_u32_e32 v6, vcc, v6, v7
	v_subb_co_u32_e32 v7, vcc, v3, v7, vcc
.LBB17_5:                               ;   in Loop: Header=BB17_3 Depth=1
	s_andn2_saveexec_b64 s[0:1], s[2:3]
	s_cbranch_execz .LBB17_7
; %bb.6:                                ;   in Loop: Header=BB17_3 Depth=1
	v_cvt_f32_u32_e32 v3, s40
	s_sub_i32 s2, 0, s40
	v_rcp_iflag_f32_e32 v3, v3
	v_mul_f32_e32 v3, 0x4f7ffffe, v3
	v_cvt_u32_f32_e32 v3, v3
	v_mul_lo_u32 v6, s2, v3
	v_mul_hi_u32 v6, v3, v6
	v_add_u32_e32 v3, v3, v6
	v_mul_hi_u32 v3, v15, v3
	v_mul_lo_u32 v6, v3, s40
	v_add_u32_e32 v7, 1, v3
	v_sub_u32_e32 v6, v15, v6
	v_subrev_u32_e32 v8, s40, v6
	v_cmp_le_u32_e32 vcc, s40, v6
	v_cndmask_b32_e32 v6, v6, v8, vcc
	v_cndmask_b32_e32 v3, v3, v7, vcc
	v_add_u32_e32 v7, 1, v3
	v_cmp_le_u32_e32 vcc, s40, v6
	v_cndmask_b32_e32 v6, v3, v7, vcc
	v_mov_b32_e32 v7, v2
.LBB17_7:                               ;   in Loop: Header=BB17_3 Depth=1
	s_or_b64 exec, exec, s[0:1]
	v_or_b32_e32 v3, s43, v7
	v_cmp_ne_u64_e32 vcc, 0, v[2:3]
                                        ; implicit-def: $vgpr8_vgpr9
	s_and_saveexec_b64 s[0:1], vcc
	s_xor_b64 s[54:55], exec, s[0:1]
	s_cbranch_execz .LBB17_9
; %bb.8:                                ;   in Loop: Header=BB17_3 Depth=1
	s_ashr_i32 s0, s43, 31
	s_add_u32 s2, s42, s0
	s_mov_b32 s1, s0
	s_addc_u32 s3, s43, s0
	s_xor_b64 s[56:57], s[2:3], s[0:1]
	v_cvt_f32_u32_e32 v3, s56
	v_cvt_f32_u32_e32 v8, s57
	s_sub_u32 s2, 0, s56
	s_subb_u32 s3, 0, s57
	v_mac_f32_e32 v3, 0x4f800000, v8
	v_rcp_f32_e32 v3, v3
	v_mul_f32_e32 v3, 0x5f7ffffc, v3
	v_mul_f32_e32 v8, 0x2f800000, v3
	v_trunc_f32_e32 v8, v8
	v_mac_f32_e32 v3, 0xcf800000, v8
	v_cvt_u32_f32_e32 v8, v8
	v_cvt_u32_f32_e32 v3, v3
	v_readfirstlane_b32 s61, v8
	v_readfirstlane_b32 s0, v3
	s_mul_i32 s1, s2, s61
	s_mul_hi_u32 s63, s2, s0
	s_mul_i32 s62, s3, s0
	s_add_i32 s1, s63, s1
	s_add_i32 s1, s1, s62
	s_mul_i32 s64, s2, s0
	s_mul_i32 s63, s0, s1
	s_mul_hi_u32 s65, s0, s64
	s_mul_hi_u32 s62, s0, s1
	s_add_u32 s63, s65, s63
	s_addc_u32 s62, 0, s62
	s_mul_hi_u32 s66, s61, s64
	s_mul_i32 s64, s61, s64
	s_add_u32 s63, s63, s64
	s_mul_hi_u32 s65, s61, s1
	s_addc_u32 s62, s62, s66
	s_addc_u32 s63, s65, 0
	s_mul_i32 s1, s61, s1
	s_add_u32 s1, s62, s1
	s_addc_u32 s62, 0, s63
	s_add_u32 s63, s0, s1
	s_cselect_b64 s[0:1], -1, 0
	s_cmp_lg_u64 s[0:1], 0
	s_addc_u32 s61, s61, s62
	s_mul_i32 s0, s2, s61
	s_mul_hi_u32 s1, s2, s63
	s_add_i32 s0, s1, s0
	s_mul_i32 s3, s3, s63
	s_add_i32 s0, s0, s3
	s_mul_i32 s2, s2, s63
	s_mul_hi_u32 s3, s61, s2
	s_mul_i32 s62, s61, s2
	s_mul_i32 s65, s63, s0
	s_mul_hi_u32 s2, s63, s2
	s_mul_hi_u32 s64, s63, s0
	s_add_u32 s2, s2, s65
	s_addc_u32 s64, 0, s64
	s_add_u32 s2, s2, s62
	s_mul_hi_u32 s1, s61, s0
	s_addc_u32 s2, s64, s3
	s_addc_u32 s1, s1, 0
	s_mul_i32 s0, s61, s0
	s_add_u32 s0, s2, s0
	s_addc_u32 s2, 0, s1
	s_add_u32 s3, s63, s0
	s_cselect_b64 s[0:1], -1, 0
	v_ashrrev_i32_e32 v3, 31, v7
	s_cmp_lg_u64 s[0:1], 0
	v_add_co_u32_e32 v8, vcc, v6, v3
	s_addc_u32 s2, s61, s2
	v_xor_b32_e32 v13, v8, v3
	v_mad_u64_u32 v[8:9], s[0:1], v13, s2, 0
	v_mul_hi_u32 v12, v13, s3
	v_addc_co_u32_e32 v11, vcc, v7, v3, vcc
	v_xor_b32_e32 v16, v11, v3
	v_add_co_u32_e32 v17, vcc, v12, v8
	v_addc_co_u32_e32 v18, vcc, 0, v9, vcc
	v_mad_u64_u32 v[8:9], s[0:1], v16, s3, 0
	v_mad_u64_u32 v[11:12], s[0:1], v16, s2, 0
	v_add_co_u32_e32 v8, vcc, v17, v8
	v_addc_co_u32_e32 v8, vcc, v18, v9, vcc
	v_addc_co_u32_e32 v9, vcc, 0, v12, vcc
	v_add_co_u32_e32 v8, vcc, v8, v11
	v_addc_co_u32_e32 v9, vcc, 0, v9, vcc
	v_mul_lo_u32 v11, s57, v8
	v_mul_lo_u32 v12, s56, v9
	v_mad_u64_u32 v[8:9], s[0:1], s56, v8, 0
	v_add3_u32 v9, v9, v12, v11
	v_sub_u32_e32 v11, v16, v9
	v_mov_b32_e32 v12, s57
	v_sub_co_u32_e32 v8, vcc, v13, v8
	v_subb_co_u32_e64 v11, s[0:1], v11, v12, vcc
	v_subrev_co_u32_e64 v13, s[0:1], s56, v8
	v_subbrev_co_u32_e64 v17, s[2:3], 0, v11, s[0:1]
	v_cmp_le_u32_e64 s[2:3], s57, v17
	v_cndmask_b32_e64 v18, 0, -1, s[2:3]
	v_cmp_le_u32_e64 s[2:3], s56, v13
	v_subb_co_u32_e64 v11, s[0:1], v11, v12, s[0:1]
	v_cndmask_b32_e64 v19, 0, -1, s[2:3]
	v_cmp_eq_u32_e64 s[2:3], s57, v17
	v_subrev_co_u32_e64 v12, s[0:1], s56, v13
	v_subb_co_u32_e32 v9, vcc, v16, v9, vcc
	v_cndmask_b32_e64 v18, v18, v19, s[2:3]
	v_subbrev_co_u32_e64 v11, s[0:1], 0, v11, s[0:1]
	v_cmp_le_u32_e32 vcc, s57, v9
	v_cmp_ne_u32_e64 s[0:1], 0, v18
	v_cndmask_b32_e64 v16, 0, -1, vcc
	v_cmp_le_u32_e32 vcc, s56, v8
	v_cndmask_b32_e64 v11, v17, v11, s[0:1]
	v_cndmask_b32_e64 v17, 0, -1, vcc
	v_cmp_eq_u32_e32 vcc, s57, v9
	v_cndmask_b32_e32 v16, v16, v17, vcc
	v_cmp_ne_u32_e32 vcc, 0, v16
	v_cndmask_b32_e32 v9, v9, v11, vcc
	v_cndmask_b32_e64 v11, v13, v12, s[0:1]
	v_cndmask_b32_e32 v8, v8, v11, vcc
	v_xor_b32_e32 v8, v8, v3
	v_xor_b32_e32 v9, v9, v3
	v_sub_co_u32_e32 v8, vcc, v8, v3
	v_subb_co_u32_e32 v9, vcc, v9, v3, vcc
.LBB17_9:                               ;   in Loop: Header=BB17_3 Depth=1
	s_andn2_saveexec_b64 s[0:1], s[54:55]
	s_cbranch_execz .LBB17_11
; %bb.10:                               ;   in Loop: Header=BB17_3 Depth=1
	v_cvt_f32_u32_e32 v3, s42
	s_sub_i32 s2, 0, s42
	v_mov_b32_e32 v9, v2
	v_rcp_iflag_f32_e32 v3, v3
	v_mul_f32_e32 v3, 0x4f7ffffe, v3
	v_cvt_u32_f32_e32 v3, v3
	v_mul_lo_u32 v8, s2, v3
	v_mul_hi_u32 v8, v3, v8
	v_add_u32_e32 v3, v3, v8
	v_mul_hi_u32 v3, v6, v3
	v_mul_lo_u32 v3, v3, s42
	v_sub_u32_e32 v3, v6, v3
	v_subrev_u32_e32 v8, s42, v3
	v_cmp_le_u32_e32 vcc, s42, v3
	v_cndmask_b32_e32 v3, v3, v8, vcc
	v_subrev_u32_e32 v8, s42, v3
	v_cmp_le_u32_e32 vcc, s42, v3
	v_cndmask_b32_e32 v8, v3, v8, vcc
.LBB17_11:                              ;   in Loop: Header=BB17_3 Depth=1
	s_or_b64 exec, exec, s[0:1]
	v_or_b32_e32 v3, s33, v14
	v_cmp_ne_u64_e32 vcc, 0, v[2:3]
                                        ; implicit-def: $vgpr12_vgpr13
	s_and_saveexec_b64 s[0:1], vcc
	s_xor_b64 s[2:3], exec, s[0:1]
	s_cbranch_execz .LBB17_13
; %bb.12:                               ;   in Loop: Header=BB17_3 Depth=1
	s_ashr_i32 s54, s33, 31
	s_add_u32 s0, s58, s54
	s_mov_b32 s55, s54
	s_addc_u32 s1, s33, s54
	s_xor_b64 s[56:57], s[0:1], s[54:55]
	v_cvt_f32_u32_e32 v3, s56
	v_cvt_f32_u32_e32 v11, s57
	s_sub_u32 s55, 0, s56
	s_subb_u32 s61, 0, s57
	v_mac_f32_e32 v3, 0x4f800000, v11
	v_rcp_f32_e32 v3, v3
	v_mul_f32_e32 v3, 0x5f7ffffc, v3
	v_mul_f32_e32 v11, 0x2f800000, v3
	v_trunc_f32_e32 v11, v11
	v_mac_f32_e32 v3, 0xcf800000, v11
	v_cvt_u32_f32_e32 v11, v11
	v_cvt_u32_f32_e32 v3, v3
	v_readfirstlane_b32 s62, v11
	v_readfirstlane_b32 s0, v3
	s_mul_i32 s1, s55, s62
	s_mul_hi_u32 s64, s55, s0
	s_mul_i32 s63, s61, s0
	s_add_i32 s1, s64, s1
	s_add_i32 s1, s1, s63
	s_mul_i32 s65, s55, s0
	s_mul_i32 s64, s0, s1
	s_mul_hi_u32 s66, s0, s65
	s_mul_hi_u32 s63, s0, s1
	s_add_u32 s64, s66, s64
	s_addc_u32 s63, 0, s63
	s_mul_hi_u32 s67, s62, s65
	s_mul_i32 s65, s62, s65
	s_add_u32 s64, s64, s65
	s_mul_hi_u32 s66, s62, s1
	s_addc_u32 s63, s63, s67
	s_addc_u32 s64, s66, 0
	s_mul_i32 s1, s62, s1
	s_add_u32 s1, s63, s1
	s_addc_u32 s63, 0, s64
	s_add_u32 s64, s0, s1
	s_cselect_b64 s[0:1], -1, 0
	s_cmp_lg_u64 s[0:1], 0
	s_addc_u32 s62, s62, s63
	s_mul_i32 s0, s55, s62
	s_mul_hi_u32 s1, s55, s64
	s_add_i32 s0, s1, s0
	s_mul_i32 s61, s61, s64
	s_add_i32 s0, s0, s61
	s_mul_i32 s55, s55, s64
	s_mul_hi_u32 s61, s62, s55
	s_mul_i32 s63, s62, s55
	s_mul_i32 s66, s64, s0
	s_mul_hi_u32 s55, s64, s55
	s_mul_hi_u32 s65, s64, s0
	s_add_u32 s55, s55, s66
	s_addc_u32 s65, 0, s65
	s_add_u32 s55, s55, s63
	s_mul_hi_u32 s1, s62, s0
	s_addc_u32 s55, s65, s61
	s_addc_u32 s1, s1, 0
	s_mul_i32 s0, s62, s0
	s_add_u32 s0, s55, s0
	s_addc_u32 s55, 0, s1
	s_add_u32 s61, s64, s0
	s_cselect_b64 s[0:1], -1, 0
	s_cmp_lg_u64 s[0:1], 0
	v_add_co_u32_e32 v3, vcc, v15, v10
	s_addc_u32 s55, s62, s55
	v_xor_b32_e32 v3, v3, v10
	v_mad_u64_u32 v[11:12], s[0:1], v3, s55, 0
	v_mul_hi_u32 v16, v3, s61
	v_addc_co_u32_e32 v13, vcc, v14, v10, vcc
	v_xor_b32_e32 v13, v13, v10
	v_add_co_u32_e32 v18, vcc, v16, v11
	v_addc_co_u32_e32 v19, vcc, 0, v12, vcc
	v_mad_u64_u32 v[11:12], s[0:1], v13, s61, 0
	v_mad_u64_u32 v[16:17], s[0:1], v13, s55, 0
	v_add_co_u32_e32 v11, vcc, v18, v11
	v_addc_co_u32_e32 v11, vcc, v19, v12, vcc
	v_addc_co_u32_e32 v12, vcc, 0, v17, vcc
	v_add_co_u32_e32 v16, vcc, v11, v16
	v_addc_co_u32_e32 v17, vcc, 0, v12, vcc
	v_mul_lo_u32 v18, s57, v16
	v_mul_lo_u32 v19, s56, v17
	v_mad_u64_u32 v[11:12], s[0:1], s56, v16, 0
	v_xor_b32_e32 v10, s54, v10
	v_add3_u32 v12, v12, v19, v18
	v_sub_u32_e32 v18, v13, v12
	v_mov_b32_e32 v19, s57
	v_sub_co_u32_e32 v3, vcc, v3, v11
	v_subb_co_u32_e64 v11, s[0:1], v18, v19, vcc
	v_subrev_co_u32_e64 v18, s[0:1], s56, v3
	v_subbrev_co_u32_e64 v11, s[0:1], 0, v11, s[0:1]
	v_cmp_le_u32_e64 s[0:1], s57, v11
	v_cndmask_b32_e64 v19, 0, -1, s[0:1]
	v_cmp_le_u32_e64 s[0:1], s56, v18
	v_cndmask_b32_e64 v18, 0, -1, s[0:1]
	v_cmp_eq_u32_e64 s[0:1], s57, v11
	v_cndmask_b32_e64 v11, v19, v18, s[0:1]
	v_add_co_u32_e64 v18, s[0:1], 2, v16
	v_subb_co_u32_e32 v12, vcc, v13, v12, vcc
	v_addc_co_u32_e64 v19, s[0:1], 0, v17, s[0:1]
	v_cmp_le_u32_e32 vcc, s57, v12
	v_add_co_u32_e64 v20, s[0:1], 1, v16
	v_cndmask_b32_e64 v13, 0, -1, vcc
	v_cmp_le_u32_e32 vcc, s56, v3
	v_addc_co_u32_e64 v21, s[0:1], 0, v17, s[0:1]
	v_cndmask_b32_e64 v3, 0, -1, vcc
	v_cmp_eq_u32_e32 vcc, s57, v12
	v_cmp_ne_u32_e64 s[0:1], 0, v11
	v_cndmask_b32_e32 v3, v13, v3, vcc
	v_cndmask_b32_e64 v11, v21, v19, s[0:1]
	v_cmp_ne_u32_e32 vcc, 0, v3
	v_cndmask_b32_e32 v3, v17, v11, vcc
	v_cndmask_b32_e64 v11, v20, v18, s[0:1]
	v_cndmask_b32_e32 v11, v16, v11, vcc
	v_xor_b32_e32 v11, v11, v10
	v_xor_b32_e32 v3, v3, v10
	v_sub_co_u32_e32 v12, vcc, v11, v10
	v_subb_co_u32_e32 v13, vcc, v3, v10, vcc
.LBB17_13:                              ;   in Loop: Header=BB17_3 Depth=1
	s_andn2_saveexec_b64 s[0:1], s[2:3]
	s_cbranch_execz .LBB17_15
; %bb.14:                               ;   in Loop: Header=BB17_3 Depth=1
	v_cvt_f32_u32_e32 v3, s58
	s_sub_i32 s2, 0, s58
	v_mov_b32_e32 v13, v2
	v_rcp_iflag_f32_e32 v3, v3
	v_mul_f32_e32 v3, 0x4f7ffffe, v3
	v_cvt_u32_f32_e32 v3, v3
	v_mul_lo_u32 v10, s2, v3
	v_mul_hi_u32 v10, v3, v10
	v_add_u32_e32 v3, v3, v10
	v_mul_hi_u32 v3, v5, v3
	v_mul_lo_u32 v10, v3, s58
	v_add_u32_e32 v11, 1, v3
	v_sub_u32_e32 v10, v5, v10
	v_subrev_u32_e32 v12, s58, v10
	v_cmp_le_u32_e32 vcc, s58, v10
	v_cndmask_b32_e32 v10, v10, v12, vcc
	v_cndmask_b32_e32 v3, v3, v11, vcc
	v_add_u32_e32 v11, 1, v3
	v_cmp_le_u32_e32 vcc, s58, v10
	v_cndmask_b32_e32 v12, v3, v11, vcc
.LBB17_15:                              ;   in Loop: Header=BB17_3 Depth=1
	s_or_b64 exec, exec, s[0:1]
	v_or_b32_e32 v3, s45, v13
	v_cmp_ne_u64_e32 vcc, 0, v[2:3]
                                        ; implicit-def: $vgpr10_vgpr11
	s_and_saveexec_b64 s[0:1], vcc
	s_xor_b64 s[54:55], exec, s[0:1]
	s_cbranch_execz .LBB17_17
; %bb.16:                               ;   in Loop: Header=BB17_3 Depth=1
	s_ashr_i32 s0, s45, 31
	s_add_u32 s2, s44, s0
	s_mov_b32 s1, s0
	s_addc_u32 s3, s45, s0
	s_xor_b64 s[56:57], s[2:3], s[0:1]
	v_cvt_f32_u32_e32 v3, s56
	v_cvt_f32_u32_e32 v10, s57
	s_sub_u32 s2, 0, s56
	s_subb_u32 s3, 0, s57
	v_mac_f32_e32 v3, 0x4f800000, v10
	v_rcp_f32_e32 v3, v3
	v_mul_f32_e32 v3, 0x5f7ffffc, v3
	v_mul_f32_e32 v10, 0x2f800000, v3
	v_trunc_f32_e32 v10, v10
	v_mac_f32_e32 v3, 0xcf800000, v10
	v_cvt_u32_f32_e32 v10, v10
	v_cvt_u32_f32_e32 v3, v3
	v_readfirstlane_b32 s61, v10
	v_readfirstlane_b32 s0, v3
	s_mul_i32 s1, s2, s61
	s_mul_hi_u32 s63, s2, s0
	s_mul_i32 s62, s3, s0
	s_add_i32 s1, s63, s1
	s_add_i32 s1, s1, s62
	s_mul_i32 s64, s2, s0
	s_mul_i32 s63, s0, s1
	s_mul_hi_u32 s65, s0, s64
	s_mul_hi_u32 s62, s0, s1
	s_add_u32 s63, s65, s63
	s_addc_u32 s62, 0, s62
	s_mul_hi_u32 s66, s61, s64
	s_mul_i32 s64, s61, s64
	s_add_u32 s63, s63, s64
	s_mul_hi_u32 s65, s61, s1
	s_addc_u32 s62, s62, s66
	s_addc_u32 s63, s65, 0
	s_mul_i32 s1, s61, s1
	s_add_u32 s1, s62, s1
	s_addc_u32 s62, 0, s63
	s_add_u32 s63, s0, s1
	s_cselect_b64 s[0:1], -1, 0
	s_cmp_lg_u64 s[0:1], 0
	s_addc_u32 s61, s61, s62
	s_mul_i32 s0, s2, s61
	s_mul_hi_u32 s1, s2, s63
	s_add_i32 s0, s1, s0
	s_mul_i32 s3, s3, s63
	s_add_i32 s0, s0, s3
	s_mul_i32 s2, s2, s63
	s_mul_hi_u32 s3, s61, s2
	s_mul_i32 s62, s61, s2
	s_mul_i32 s65, s63, s0
	s_mul_hi_u32 s2, s63, s2
	s_mul_hi_u32 s64, s63, s0
	s_add_u32 s2, s2, s65
	s_addc_u32 s64, 0, s64
	s_add_u32 s2, s2, s62
	s_mul_hi_u32 s1, s61, s0
	s_addc_u32 s2, s64, s3
	s_addc_u32 s1, s1, 0
	s_mul_i32 s0, s61, s0
	s_add_u32 s0, s2, s0
	s_addc_u32 s2, 0, s1
	s_add_u32 s3, s63, s0
	s_cselect_b64 s[0:1], -1, 0
	v_ashrrev_i32_e32 v3, 31, v13
	s_cmp_lg_u64 s[0:1], 0
	v_add_co_u32_e32 v10, vcc, v12, v3
	s_addc_u32 s2, s61, s2
	v_xor_b32_e32 v16, v10, v3
	v_addc_co_u32_e32 v12, vcc, v13, v3, vcc
	v_mad_u64_u32 v[10:11], s[0:1], v16, s2, 0
	v_mul_hi_u32 v13, v16, s3
	v_xor_b32_e32 v17, v12, v3
	v_add_co_u32_e32 v18, vcc, v13, v10
	v_addc_co_u32_e32 v19, vcc, 0, v11, vcc
	v_mad_u64_u32 v[10:11], s[0:1], v17, s3, 0
	v_mad_u64_u32 v[12:13], s[0:1], v17, s2, 0
	v_add_co_u32_e32 v10, vcc, v18, v10
	v_addc_co_u32_e32 v10, vcc, v19, v11, vcc
	v_addc_co_u32_e32 v11, vcc, 0, v13, vcc
	v_add_co_u32_e32 v10, vcc, v10, v12
	v_addc_co_u32_e32 v11, vcc, 0, v11, vcc
	v_mul_lo_u32 v12, s57, v10
	v_mul_lo_u32 v13, s56, v11
	v_mad_u64_u32 v[10:11], s[0:1], s56, v10, 0
	v_add3_u32 v11, v11, v13, v12
	v_sub_u32_e32 v12, v17, v11
	v_mov_b32_e32 v13, s57
	v_sub_co_u32_e32 v10, vcc, v16, v10
	v_subb_co_u32_e64 v12, s[0:1], v12, v13, vcc
	v_subrev_co_u32_e64 v16, s[0:1], s56, v10
	v_subbrev_co_u32_e64 v18, s[2:3], 0, v12, s[0:1]
	v_cmp_le_u32_e64 s[2:3], s57, v18
	v_cndmask_b32_e64 v19, 0, -1, s[2:3]
	v_cmp_le_u32_e64 s[2:3], s56, v16
	v_subb_co_u32_e64 v12, s[0:1], v12, v13, s[0:1]
	v_cndmask_b32_e64 v20, 0, -1, s[2:3]
	v_cmp_eq_u32_e64 s[2:3], s57, v18
	v_subrev_co_u32_e64 v13, s[0:1], s56, v16
	v_subb_co_u32_e32 v11, vcc, v17, v11, vcc
	v_cndmask_b32_e64 v19, v19, v20, s[2:3]
	v_subbrev_co_u32_e64 v12, s[0:1], 0, v12, s[0:1]
	v_cmp_le_u32_e32 vcc, s57, v11
	v_cmp_ne_u32_e64 s[0:1], 0, v19
	v_cndmask_b32_e64 v17, 0, -1, vcc
	v_cmp_le_u32_e32 vcc, s56, v10
	v_cndmask_b32_e64 v12, v18, v12, s[0:1]
	v_cndmask_b32_e64 v18, 0, -1, vcc
	v_cmp_eq_u32_e32 vcc, s57, v11
	v_cndmask_b32_e32 v17, v17, v18, vcc
	v_cmp_ne_u32_e32 vcc, 0, v17
	v_cndmask_b32_e32 v11, v11, v12, vcc
	v_cndmask_b32_e64 v12, v16, v13, s[0:1]
	v_cndmask_b32_e32 v10, v10, v12, vcc
	v_xor_b32_e32 v10, v10, v3
	v_xor_b32_e32 v11, v11, v3
	v_sub_co_u32_e32 v10, vcc, v10, v3
	v_subb_co_u32_e32 v11, vcc, v11, v3, vcc
                                        ; implicit-def: $vgpr12_vgpr13
.LBB17_17:                              ;   in Loop: Header=BB17_3 Depth=1
	s_andn2_saveexec_b64 s[0:1], s[54:55]
	s_cbranch_execz .LBB17_19
; %bb.18:                               ;   in Loop: Header=BB17_3 Depth=1
	v_cvt_f32_u32_e32 v3, s44
	s_sub_i32 s2, 0, s44
	v_mov_b32_e32 v11, v2
	v_rcp_iflag_f32_e32 v3, v3
	v_mul_f32_e32 v3, 0x4f7ffffe, v3
	v_cvt_u32_f32_e32 v3, v3
	v_mul_lo_u32 v10, s2, v3
	v_mul_hi_u32 v10, v3, v10
	v_add_u32_e32 v3, v3, v10
	v_mul_hi_u32 v3, v12, v3
	v_mul_lo_u32 v3, v3, s44
	v_sub_u32_e32 v3, v12, v3
	v_subrev_u32_e32 v10, s44, v3
	v_cmp_le_u32_e32 vcc, s44, v3
	v_cndmask_b32_e32 v3, v3, v10, vcc
	v_subrev_u32_e32 v10, s44, v3
	v_cmp_le_u32_e32 vcc, s44, v3
	v_cndmask_b32_e32 v10, v3, v10, vcc
.LBB17_19:                              ;   in Loop: Header=BB17_3 Depth=1
	s_or_b64 exec, exec, s[0:1]
	v_mul_lo_u32 v3, v7, s40
	v_mul_lo_u32 v12, v6, s41
	v_mad_u64_u32 v[6:7], s[0:1], v6, s40, 0
	v_mul_lo_u32 v16, s11, v8
	v_mul_lo_u32 v17, s10, v9
	v_add3_u32 v7, v7, v12, v3
	v_sub_co_u32_e32 v3, vcc, v15, v6
	v_subb_co_u32_e32 v12, vcc, v14, v7, vcc
	v_mul_lo_u32 v13, s9, v3
	v_mul_lo_u32 v14, s8, v12
	v_mad_u64_u32 v[6:7], s[0:1], s8, v3, 0
	v_mov_b32_e32 v15, s7
	s_mov_b64 s[2:3], -1
	v_add3_u32 v7, v7, v14, v13
	v_mad_u64_u32 v[13:14], s[0:1], s10, v8, 0
	v_lshlrev_b64 v[6:7], 3, v[6:7]
	s_mov_b64 s[56:57], -1
	v_add_co_u32_e32 v18, vcc, s6, v6
	v_add3_u32 v14, v14, v17, v16
	v_addc_co_u32_e32 v15, vcc, v15, v7, vcc
	v_lshlrev_b64 v[6:7], 3, v[13:14]
	v_mul_lo_u32 v16, s13, v10
	v_mul_lo_u32 v17, s12, v11
	v_mad_u64_u32 v[13:14], s[0:1], s12, v10, 0
	v_add_co_u32_e32 v18, vcc, v18, v6
	v_add3_u32 v14, v14, v17, v16
	v_addc_co_u32_e32 v15, vcc, v15, v7, vcc
	v_lshlrev_b64 v[6:7], 3, v[13:14]
	v_add_co_u32_e32 v6, vcc, v18, v6
	v_addc_co_u32_e32 v7, vcc, v15, v7, vcc
	global_load_dwordx2 v[6:7], v[6:7], off
	s_waitcnt vmcnt(0)
	v_cmp_ne_u64_e32 vcc, s[38:39], v[6:7]
	s_and_saveexec_b64 s[54:55], vcc
	s_cbranch_execz .LBB17_26
; %bb.20:                               ;   in Loop: Header=BB17_3 Depth=1
	v_cmp_lt_i64_e32 vcc, -1, v[6:7]
	v_cmp_gt_i64_e64 s[0:1], s[46:47], v[6:7]
	s_mov_b64 s[56:57], 0
	s_and_b64 s[62:63], vcc, s[0:1]
	s_and_saveexec_b64 s[0:1], s[62:63]
	s_cbranch_execz .LBB17_25
; %bb.21:                               ;   in Loop: Header=BB17_3 Depth=1
	s_andn2_b64 vcc, exec, s[50:51]
	s_cbranch_vccnz .LBB17_23
; %bb.22:                               ;   in Loop: Header=BB17_3 Depth=1
	v_lshlrev_b64 v[13:14], 2, v[6:7]
	v_mov_b32_e32 v15, s37
	v_add_co_u32_e32 v13, vcc, s36, v13
	v_addc_co_u32_e32 v14, vcc, v15, v14, vcc
	global_load_dword v13, v[13:14], off
	s_branch .LBB17_24
.LBB17_23:                              ;   in Loop: Header=BB17_3 Depth=1
	v_mov_b32_e32 v13, 1.0
.LBB17_24:                              ;   in Loop: Header=BB17_3 Depth=1
	s_waitcnt lgkmcnt(0)
	v_mul_lo_u32 v16, s17, v3
	v_mul_lo_u32 v17, s16, v12
	v_mad_u64_u32 v[14:15], s[62:63], s16, v3, 0
	v_mul_lo_u32 v19, s19, v8
	v_mul_lo_u32 v20, s18, v9
	v_add3_u32 v15, v15, v17, v16
	v_mad_u64_u32 v[16:17], s[62:63], s18, v8, 0
	v_lshlrev_b64 v[14:15], 2, v[14:15]
	v_mov_b32_e32 v18, s15
	v_add_co_u32_e32 v21, vcc, s14, v14
	v_add3_u32 v17, v17, v20, v19
	v_addc_co_u32_e32 v18, vcc, v18, v15, vcc
	v_lshlrev_b64 v[14:15], 2, v[16:17]
	v_mul_lo_u32 v19, s21, v10
	v_mul_lo_u32 v20, s20, v11
	v_mad_u64_u32 v[16:17], s[62:63], s20, v10, 0
	v_add_co_u32_e32 v21, vcc, v21, v14
	v_add3_u32 v17, v17, v20, v19
	v_addc_co_u32_e32 v18, vcc, v18, v15, vcc
	v_lshlrev_b64 v[14:15], 2, v[16:17]
	v_mul_lo_u32 v17, s25, v3
	v_add_co_u32_e32 v14, vcc, v21, v14
	v_addc_co_u32_e32 v15, vcc, v18, v15, vcc
	global_load_dword v16, v[14:15], off
	v_mul_lo_u32 v12, s24, v12
	v_mad_u64_u32 v[14:15], s[62:63], s24, v3, 0
	v_mul_lo_u32 v18, s27, v6
	v_mul_lo_u32 v19, s26, v7
	v_mad_u64_u32 v[6:7], s[62:63], s26, v6, 0
	v_mul_lo_u32 v20, s29, v8
	v_mul_lo_u32 v21, s28, v9
	v_mad_u64_u32 v[8:9], s[62:63], s28, v8, 0
	v_add3_u32 v15, v15, v12, v17
	v_lshlrev_b64 v[14:15], 2, v[14:15]
	v_mul_lo_u32 v22, s31, v10
	v_mul_lo_u32 v23, s30, v11
	v_mad_u64_u32 v[10:11], s[62:63], s30, v10, 0
	v_add3_u32 v7, v7, v19, v18
	v_mov_b32_e32 v3, s23
	v_lshlrev_b64 v[6:7], 2, v[6:7]
	v_add_co_u32_e32 v12, vcc, s22, v14
	v_add3_u32 v9, v9, v21, v20
	v_addc_co_u32_e32 v3, vcc, v3, v15, vcc
	v_lshlrev_b64 v[8:9], 2, v[8:9]
	v_add_co_u32_e32 v6, vcc, v12, v6
	v_add3_u32 v11, v11, v23, v22
	v_addc_co_u32_e32 v3, vcc, v3, v7, vcc
	v_lshlrev_b64 v[10:11], 2, v[10:11]
	v_add_co_u32_e32 v6, vcc, v6, v8
	v_addc_co_u32_e32 v3, vcc, v3, v9, vcc
	v_add_co_u32_e32 v6, vcc, v6, v10
	v_addc_co_u32_e32 v7, vcc, v3, v11, vcc
	s_mov_b64 s[56:57], exec
	s_waitcnt vmcnt(0)
	v_mul_f32_e64 v8, v16, -v13
	global_store_dword v[6:7], v8, off
.LBB17_25:                              ;   in Loop: Header=BB17_3 Depth=1
	s_or_b64 exec, exec, s[0:1]
	s_orn2_b64 s[56:57], s[56:57], exec
.LBB17_26:                              ;   in Loop: Header=BB17_3 Depth=1
	s_or_b64 exec, exec, s[54:55]
	s_or_b64 s[52:53], s[52:53], exec
	s_and_saveexec_b64 s[0:1], s[56:57]
	s_cbranch_execz .LBB17_2
; %bb.27:                               ;   in Loop: Header=BB17_3 Depth=1
	v_add_co_u32_e32 v0, vcc, s59, v0
	v_addc_co_u32_e32 v1, vcc, 0, v1, vcc
	v_mov_b32_e32 v3, s60
	v_add_co_u32_e32 v4, vcc, 0, v4
	v_addc_co_u32_e32 v5, vcc, v5, v3, vcc
	v_cmp_le_i64_e32 vcc, s[34:35], v[0:1]
	s_andn2_b64 s[52:53], s[52:53], exec
	s_orn2_b64 s[2:3], vcc, exec
	s_branch .LBB17_2
.LBB17_28:
	s_or_b64 exec, exec, s[48:49]
	s_and_saveexec_b64 s[0:1], s[4:5]
	s_xor_b64 s[0:1], exec, s[0:1]
	s_cbranch_execnz .LBB17_30
.LBB17_29:
	s_endpgm
.LBB17_30:
	s_trap 2
	; divergent unreachable
	s_endpgm
	.section	.rodata,"a",@progbits
	.p2align	6, 0x0
	.amdhsa_kernel _ZN2at6native12_GLOBAL__N_136nll_loss2d_backward_no_reduce_kernelIfEEvlN5torch10headeronly6detail27GenericPackedTensorAccessorINS5_14TensorAccessorIN3c108ArrayRefIlEElLm2ENS4_16DefaultPtrTraitsElEENS_6detail16IndexBoundsCheckILm3ElEElLm3ESB_lEENS6_INS7_ISA_T_Lm2ESB_lEESF_SH_Lm3ESB_lEENS6_INS7_ISA_SH_Lm3ESB_lEENSE_ILm4ElEESH_Lm4ESB_lEEPKSH_l
		.amdhsa_group_segment_fixed_size 0
		.amdhsa_private_segment_fixed_size 0
		.amdhsa_kernarg_size 464
		.amdhsa_user_sgpr_count 6
		.amdhsa_user_sgpr_private_segment_buffer 1
		.amdhsa_user_sgpr_dispatch_ptr 0
		.amdhsa_user_sgpr_queue_ptr 0
		.amdhsa_user_sgpr_kernarg_segment_ptr 1
		.amdhsa_user_sgpr_dispatch_id 0
		.amdhsa_user_sgpr_flat_scratch_init 0
		.amdhsa_user_sgpr_private_segment_size 0
		.amdhsa_uses_dynamic_stack 0
		.amdhsa_system_sgpr_private_segment_wavefront_offset 0
		.amdhsa_system_sgpr_workgroup_id_x 1
		.amdhsa_system_sgpr_workgroup_id_y 0
		.amdhsa_system_sgpr_workgroup_id_z 0
		.amdhsa_system_sgpr_workgroup_info 0
		.amdhsa_system_vgpr_workitem_id 0
		.amdhsa_next_free_vgpr 24
		.amdhsa_next_free_sgpr 68
		.amdhsa_reserve_vcc 1
		.amdhsa_reserve_flat_scratch 0
		.amdhsa_float_round_mode_32 0
		.amdhsa_float_round_mode_16_64 0
		.amdhsa_float_denorm_mode_32 3
		.amdhsa_float_denorm_mode_16_64 3
		.amdhsa_dx10_clamp 1
		.amdhsa_ieee_mode 1
		.amdhsa_fp16_overflow 0
		.amdhsa_exception_fp_ieee_invalid_op 0
		.amdhsa_exception_fp_denorm_src 0
		.amdhsa_exception_fp_ieee_div_zero 0
		.amdhsa_exception_fp_ieee_overflow 0
		.amdhsa_exception_fp_ieee_underflow 0
		.amdhsa_exception_fp_ieee_inexact 0
		.amdhsa_exception_int_div_zero 0
	.end_amdhsa_kernel
	.section	.text._ZN2at6native12_GLOBAL__N_136nll_loss2d_backward_no_reduce_kernelIfEEvlN5torch10headeronly6detail27GenericPackedTensorAccessorINS5_14TensorAccessorIN3c108ArrayRefIlEElLm2ENS4_16DefaultPtrTraitsElEENS_6detail16IndexBoundsCheckILm3ElEElLm3ESB_lEENS6_INS7_ISA_T_Lm2ESB_lEESF_SH_Lm3ESB_lEENS6_INS7_ISA_SH_Lm3ESB_lEENSE_ILm4ElEESH_Lm4ESB_lEEPKSH_l,"axG",@progbits,_ZN2at6native12_GLOBAL__N_136nll_loss2d_backward_no_reduce_kernelIfEEvlN5torch10headeronly6detail27GenericPackedTensorAccessorINS5_14TensorAccessorIN3c108ArrayRefIlEElLm2ENS4_16DefaultPtrTraitsElEENS_6detail16IndexBoundsCheckILm3ElEElLm3ESB_lEENS6_INS7_ISA_T_Lm2ESB_lEESF_SH_Lm3ESB_lEENS6_INS7_ISA_SH_Lm3ESB_lEENSE_ILm4ElEESH_Lm4ESB_lEEPKSH_l,comdat
.Lfunc_end17:
	.size	_ZN2at6native12_GLOBAL__N_136nll_loss2d_backward_no_reduce_kernelIfEEvlN5torch10headeronly6detail27GenericPackedTensorAccessorINS5_14TensorAccessorIN3c108ArrayRefIlEElLm2ENS4_16DefaultPtrTraitsElEENS_6detail16IndexBoundsCheckILm3ElEElLm3ESB_lEENS6_INS7_ISA_T_Lm2ESB_lEESF_SH_Lm3ESB_lEENS6_INS7_ISA_SH_Lm3ESB_lEENSE_ILm4ElEESH_Lm4ESB_lEEPKSH_l, .Lfunc_end17-_ZN2at6native12_GLOBAL__N_136nll_loss2d_backward_no_reduce_kernelIfEEvlN5torch10headeronly6detail27GenericPackedTensorAccessorINS5_14TensorAccessorIN3c108ArrayRefIlEElLm2ENS4_16DefaultPtrTraitsElEENS_6detail16IndexBoundsCheckILm3ElEElLm3ESB_lEENS6_INS7_ISA_T_Lm2ESB_lEESF_SH_Lm3ESB_lEENS6_INS7_ISA_SH_Lm3ESB_lEENSE_ILm4ElEESH_Lm4ESB_lEEPKSH_l
                                        ; -- End function
	.set _ZN2at6native12_GLOBAL__N_136nll_loss2d_backward_no_reduce_kernelIfEEvlN5torch10headeronly6detail27GenericPackedTensorAccessorINS5_14TensorAccessorIN3c108ArrayRefIlEElLm2ENS4_16DefaultPtrTraitsElEENS_6detail16IndexBoundsCheckILm3ElEElLm3ESB_lEENS6_INS7_ISA_T_Lm2ESB_lEESF_SH_Lm3ESB_lEENS6_INS7_ISA_SH_Lm3ESB_lEENSE_ILm4ElEESH_Lm4ESB_lEEPKSH_l.num_vgpr, 24
	.set _ZN2at6native12_GLOBAL__N_136nll_loss2d_backward_no_reduce_kernelIfEEvlN5torch10headeronly6detail27GenericPackedTensorAccessorINS5_14TensorAccessorIN3c108ArrayRefIlEElLm2ENS4_16DefaultPtrTraitsElEENS_6detail16IndexBoundsCheckILm3ElEElLm3ESB_lEENS6_INS7_ISA_T_Lm2ESB_lEESF_SH_Lm3ESB_lEENS6_INS7_ISA_SH_Lm3ESB_lEENSE_ILm4ElEESH_Lm4ESB_lEEPKSH_l.num_agpr, 0
	.set _ZN2at6native12_GLOBAL__N_136nll_loss2d_backward_no_reduce_kernelIfEEvlN5torch10headeronly6detail27GenericPackedTensorAccessorINS5_14TensorAccessorIN3c108ArrayRefIlEElLm2ENS4_16DefaultPtrTraitsElEENS_6detail16IndexBoundsCheckILm3ElEElLm3ESB_lEENS6_INS7_ISA_T_Lm2ESB_lEESF_SH_Lm3ESB_lEENS6_INS7_ISA_SH_Lm3ESB_lEENSE_ILm4ElEESH_Lm4ESB_lEEPKSH_l.numbered_sgpr, 68
	.set _ZN2at6native12_GLOBAL__N_136nll_loss2d_backward_no_reduce_kernelIfEEvlN5torch10headeronly6detail27GenericPackedTensorAccessorINS5_14TensorAccessorIN3c108ArrayRefIlEElLm2ENS4_16DefaultPtrTraitsElEENS_6detail16IndexBoundsCheckILm3ElEElLm3ESB_lEENS6_INS7_ISA_T_Lm2ESB_lEESF_SH_Lm3ESB_lEENS6_INS7_ISA_SH_Lm3ESB_lEENSE_ILm4ElEESH_Lm4ESB_lEEPKSH_l.num_named_barrier, 0
	.set _ZN2at6native12_GLOBAL__N_136nll_loss2d_backward_no_reduce_kernelIfEEvlN5torch10headeronly6detail27GenericPackedTensorAccessorINS5_14TensorAccessorIN3c108ArrayRefIlEElLm2ENS4_16DefaultPtrTraitsElEENS_6detail16IndexBoundsCheckILm3ElEElLm3ESB_lEENS6_INS7_ISA_T_Lm2ESB_lEESF_SH_Lm3ESB_lEENS6_INS7_ISA_SH_Lm3ESB_lEENSE_ILm4ElEESH_Lm4ESB_lEEPKSH_l.private_seg_size, 0
	.set _ZN2at6native12_GLOBAL__N_136nll_loss2d_backward_no_reduce_kernelIfEEvlN5torch10headeronly6detail27GenericPackedTensorAccessorINS5_14TensorAccessorIN3c108ArrayRefIlEElLm2ENS4_16DefaultPtrTraitsElEENS_6detail16IndexBoundsCheckILm3ElEElLm3ESB_lEENS6_INS7_ISA_T_Lm2ESB_lEESF_SH_Lm3ESB_lEENS6_INS7_ISA_SH_Lm3ESB_lEENSE_ILm4ElEESH_Lm4ESB_lEEPKSH_l.uses_vcc, 1
	.set _ZN2at6native12_GLOBAL__N_136nll_loss2d_backward_no_reduce_kernelIfEEvlN5torch10headeronly6detail27GenericPackedTensorAccessorINS5_14TensorAccessorIN3c108ArrayRefIlEElLm2ENS4_16DefaultPtrTraitsElEENS_6detail16IndexBoundsCheckILm3ElEElLm3ESB_lEENS6_INS7_ISA_T_Lm2ESB_lEESF_SH_Lm3ESB_lEENS6_INS7_ISA_SH_Lm3ESB_lEENSE_ILm4ElEESH_Lm4ESB_lEEPKSH_l.uses_flat_scratch, 0
	.set _ZN2at6native12_GLOBAL__N_136nll_loss2d_backward_no_reduce_kernelIfEEvlN5torch10headeronly6detail27GenericPackedTensorAccessorINS5_14TensorAccessorIN3c108ArrayRefIlEElLm2ENS4_16DefaultPtrTraitsElEENS_6detail16IndexBoundsCheckILm3ElEElLm3ESB_lEENS6_INS7_ISA_T_Lm2ESB_lEESF_SH_Lm3ESB_lEENS6_INS7_ISA_SH_Lm3ESB_lEENSE_ILm4ElEESH_Lm4ESB_lEEPKSH_l.has_dyn_sized_stack, 0
	.set _ZN2at6native12_GLOBAL__N_136nll_loss2d_backward_no_reduce_kernelIfEEvlN5torch10headeronly6detail27GenericPackedTensorAccessorINS5_14TensorAccessorIN3c108ArrayRefIlEElLm2ENS4_16DefaultPtrTraitsElEENS_6detail16IndexBoundsCheckILm3ElEElLm3ESB_lEENS6_INS7_ISA_T_Lm2ESB_lEESF_SH_Lm3ESB_lEENS6_INS7_ISA_SH_Lm3ESB_lEENSE_ILm4ElEESH_Lm4ESB_lEEPKSH_l.has_recursion, 0
	.set _ZN2at6native12_GLOBAL__N_136nll_loss2d_backward_no_reduce_kernelIfEEvlN5torch10headeronly6detail27GenericPackedTensorAccessorINS5_14TensorAccessorIN3c108ArrayRefIlEElLm2ENS4_16DefaultPtrTraitsElEENS_6detail16IndexBoundsCheckILm3ElEElLm3ESB_lEENS6_INS7_ISA_T_Lm2ESB_lEESF_SH_Lm3ESB_lEENS6_INS7_ISA_SH_Lm3ESB_lEENSE_ILm4ElEESH_Lm4ESB_lEEPKSH_l.has_indirect_call, 0
	.section	.AMDGPU.csdata,"",@progbits
; Kernel info:
; codeLenInByte = 3908
; TotalNumSgprs: 72
; NumVgprs: 24
; ScratchSize: 0
; MemoryBound: 0
; FloatMode: 240
; IeeeMode: 1
; LDSByteSize: 0 bytes/workgroup (compile time only)
; SGPRBlocks: 8
; VGPRBlocks: 5
; NumSGPRsForWavesPerEU: 72
; NumVGPRsForWavesPerEU: 24
; Occupancy: 10
; WaveLimiterHint : 1
; COMPUTE_PGM_RSRC2:SCRATCH_EN: 0
; COMPUTE_PGM_RSRC2:USER_SGPR: 6
; COMPUTE_PGM_RSRC2:TRAP_HANDLER: 0
; COMPUTE_PGM_RSRC2:TGID_X_EN: 1
; COMPUTE_PGM_RSRC2:TGID_Y_EN: 0
; COMPUTE_PGM_RSRC2:TGID_Z_EN: 0
; COMPUTE_PGM_RSRC2:TIDIG_COMP_CNT: 0
	.section	.text._ZN2at6native12_GLOBAL__N_136nll_loss2d_backward_no_reduce_kernelIN3c104HalfEEEvlN5torch10headeronly6detail27GenericPackedTensorAccessorINS7_14TensorAccessorINS3_8ArrayRefIlEElLm2ENS6_16DefaultPtrTraitsElEENS_6detail16IndexBoundsCheckILm3ElEElLm3ESC_lEENS8_INS9_ISB_T_Lm2ESC_lEESG_SI_Lm3ESC_lEENS8_INS9_ISB_SI_Lm3ESC_lEENSF_ILm4ElEESI_Lm4ESC_lEEPKSI_l,"axG",@progbits,_ZN2at6native12_GLOBAL__N_136nll_loss2d_backward_no_reduce_kernelIN3c104HalfEEEvlN5torch10headeronly6detail27GenericPackedTensorAccessorINS7_14TensorAccessorINS3_8ArrayRefIlEElLm2ENS6_16DefaultPtrTraitsElEENS_6detail16IndexBoundsCheckILm3ElEElLm3ESC_lEENS8_INS9_ISB_T_Lm2ESC_lEESG_SI_Lm3ESC_lEENS8_INS9_ISB_SI_Lm3ESC_lEENSF_ILm4ElEESI_Lm4ESC_lEEPKSI_l,comdat
	.globl	_ZN2at6native12_GLOBAL__N_136nll_loss2d_backward_no_reduce_kernelIN3c104HalfEEEvlN5torch10headeronly6detail27GenericPackedTensorAccessorINS7_14TensorAccessorINS3_8ArrayRefIlEElLm2ENS6_16DefaultPtrTraitsElEENS_6detail16IndexBoundsCheckILm3ElEElLm3ESC_lEENS8_INS9_ISB_T_Lm2ESC_lEESG_SI_Lm3ESC_lEENS8_INS9_ISB_SI_Lm3ESC_lEENSF_ILm4ElEESI_Lm4ESC_lEEPKSI_l ; -- Begin function _ZN2at6native12_GLOBAL__N_136nll_loss2d_backward_no_reduce_kernelIN3c104HalfEEEvlN5torch10headeronly6detail27GenericPackedTensorAccessorINS7_14TensorAccessorINS3_8ArrayRefIlEElLm2ENS6_16DefaultPtrTraitsElEENS_6detail16IndexBoundsCheckILm3ElEElLm3ESC_lEENS8_INS9_ISB_T_Lm2ESC_lEESG_SI_Lm3ESC_lEENS8_INS9_ISB_SI_Lm3ESC_lEENSF_ILm4ElEESI_Lm4ESC_lEEPKSI_l
	.p2align	8
	.type	_ZN2at6native12_GLOBAL__N_136nll_loss2d_backward_no_reduce_kernelIN3c104HalfEEEvlN5torch10headeronly6detail27GenericPackedTensorAccessorINS7_14TensorAccessorINS3_8ArrayRefIlEElLm2ENS6_16DefaultPtrTraitsElEENS_6detail16IndexBoundsCheckILm3ElEElLm3ESC_lEENS8_INS9_ISB_T_Lm2ESC_lEESG_SI_Lm3ESC_lEENS8_INS9_ISB_SI_Lm3ESC_lEENSF_ILm4ElEESI_Lm4ESC_lEEPKSI_l,@function
_ZN2at6native12_GLOBAL__N_136nll_loss2d_backward_no_reduce_kernelIN3c104HalfEEEvlN5torch10headeronly6detail27GenericPackedTensorAccessorINS7_14TensorAccessorINS3_8ArrayRefIlEElLm2ENS6_16DefaultPtrTraitsElEENS_6detail16IndexBoundsCheckILm3ElEElLm3ESC_lEENS8_INS9_ISB_T_Lm2ESC_lEESG_SI_Lm3ESC_lEENS8_INS9_ISB_SI_Lm3ESC_lEENSF_ILm4ElEESI_Lm4ESC_lEEPKSI_l: ; @_ZN2at6native12_GLOBAL__N_136nll_loss2d_backward_no_reduce_kernelIN3c104HalfEEEvlN5torch10headeronly6detail27GenericPackedTensorAccessorINS7_14TensorAccessorINS3_8ArrayRefIlEElLm2ENS6_16DefaultPtrTraitsElEENS_6detail16IndexBoundsCheckILm3ElEElLm3ESC_lEENS8_INS9_ISB_T_Lm2ESC_lEESG_SI_Lm3ESC_lEENS8_INS9_ISB_SI_Lm3ESC_lEENSF_ILm4ElEESI_Lm4ESC_lEEPKSI_l
; %bb.0:
	s_load_dword s2, s[4:5], 0xdc
	s_load_dwordx2 s[34:35], s[4:5], 0x0
	s_add_u32 s0, s4, 0xd0
	v_mov_b32_e32 v2, 0
	s_addc_u32 s1, s5, 0
	s_waitcnt lgkmcnt(0)
	s_and_b32 s2, s2, 0xffff
	v_mov_b32_e32 v1, v2
	v_mov_b32_e32 v3, s6
	v_mad_u64_u32 v[0:1], s[6:7], s2, v3, v[0:1]
	v_cmp_gt_i64_e32 vcc, s[34:35], v[0:1]
	s_and_saveexec_b64 s[6:7], vcc
	s_cbranch_execz .LBB18_29
; %bb.1:
	s_load_dwordx4 s[36:39], s[4:5], 0xc0
	s_load_dwordx2 s[6:7], s[4:5], 0x8
	s_load_dwordx4 s[40:43], s[4:5], 0x10
	s_load_dwordx2 s[44:45], s[4:5], 0x20
	s_load_dwordx8 s[8:15], s[4:5], 0x28
	s_load_dwordx2 s[46:47], s[4:5], 0x88
	s_load_dword s3, s[0:1], 0x0
	s_waitcnt lgkmcnt(0)
	s_mul_i32 s0, s42, s41
	s_mul_hi_u32 s1, s42, s40
	s_load_dwordx8 s[16:23], s[4:5], 0x60
	s_load_dwordx8 s[24:31], s[4:5], 0xa0
	s_add_i32 s0, s1, s0
	s_mul_i32 s1, s43, s40
	s_add_i32 s33, s0, s1
	v_mov_b32_e32 v3, v0
	s_cmp_lg_u64 s[36:37], 0
	s_mul_i32 s59, s3, s2
	v_mov_b32_e32 v5, v3
	s_mul_i32 s58, s42, s40
	s_mov_b64 s[48:49], 0
	s_cselect_b64 s[50:51], -1, 0
	s_mov_b32 s60, s59
	v_mov_b32_e32 v4, v2
                                        ; implicit-def: $sgpr4_sgpr5
                                        ; implicit-def: $sgpr52_sgpr53
	s_branch .LBB18_3
.LBB18_2:                               ;   in Loop: Header=BB18_3 Depth=1
	s_or_b64 exec, exec, s[0:1]
	s_and_b64 s[0:1], exec, s[2:3]
	s_or_b64 s[48:49], s[0:1], s[48:49]
	s_andn2_b64 s[0:1], s[4:5], exec
	s_and_b64 s[2:3], s[52:53], exec
	s_or_b64 s[4:5], s[0:1], s[2:3]
	s_andn2_b64 exec, exec, s[48:49]
	s_cbranch_execz .LBB18_28
.LBB18_3:                               ; =>This Inner Loop Header: Depth=1
	v_ashrrev_i32_e32 v14, 31, v5
	v_or_b32_e32 v3, s41, v14
	v_cmp_ne_u64_e32 vcc, 0, v[2:3]
	v_mov_b32_e32 v15, v5
	v_ashrrev_i32_e32 v10, 31, v14
                                        ; implicit-def: $vgpr6_vgpr7
	s_and_saveexec_b64 s[0:1], vcc
	s_xor_b64 s[2:3], exec, s[0:1]
	s_cbranch_execz .LBB18_5
; %bb.4:                                ;   in Loop: Header=BB18_3 Depth=1
	s_ashr_i32 s54, s41, 31
	s_add_u32 s0, s40, s54
	s_mov_b32 s55, s54
	s_addc_u32 s1, s41, s54
	s_xor_b64 s[56:57], s[0:1], s[54:55]
	v_cvt_f32_u32_e32 v3, s56
	v_cvt_f32_u32_e32 v6, s57
	s_sub_u32 s55, 0, s56
	s_subb_u32 s61, 0, s57
	v_mac_f32_e32 v3, 0x4f800000, v6
	v_rcp_f32_e32 v3, v3
	v_mul_f32_e32 v3, 0x5f7ffffc, v3
	v_mul_f32_e32 v6, 0x2f800000, v3
	v_trunc_f32_e32 v6, v6
	v_mac_f32_e32 v3, 0xcf800000, v6
	v_cvt_u32_f32_e32 v6, v6
	v_cvt_u32_f32_e32 v3, v3
	v_readfirstlane_b32 s62, v6
	v_readfirstlane_b32 s0, v3
	s_mul_i32 s1, s55, s62
	s_mul_hi_u32 s64, s55, s0
	s_mul_i32 s63, s61, s0
	s_add_i32 s1, s64, s1
	s_add_i32 s1, s1, s63
	s_mul_i32 s65, s55, s0
	s_mul_i32 s64, s0, s1
	s_mul_hi_u32 s66, s0, s65
	s_mul_hi_u32 s63, s0, s1
	s_add_u32 s64, s66, s64
	s_addc_u32 s63, 0, s63
	s_mul_hi_u32 s67, s62, s65
	s_mul_i32 s65, s62, s65
	s_add_u32 s64, s64, s65
	s_mul_hi_u32 s66, s62, s1
	s_addc_u32 s63, s63, s67
	s_addc_u32 s64, s66, 0
	s_mul_i32 s1, s62, s1
	s_add_u32 s1, s63, s1
	s_addc_u32 s63, 0, s64
	s_add_u32 s64, s0, s1
	s_cselect_b64 s[0:1], -1, 0
	s_cmp_lg_u64 s[0:1], 0
	s_addc_u32 s62, s62, s63
	s_mul_i32 s0, s55, s62
	s_mul_hi_u32 s1, s55, s64
	s_add_i32 s0, s1, s0
	s_mul_i32 s61, s61, s64
	s_add_i32 s0, s0, s61
	s_mul_i32 s55, s55, s64
	s_mul_hi_u32 s61, s62, s55
	s_mul_i32 s63, s62, s55
	s_mul_i32 s66, s64, s0
	s_mul_hi_u32 s55, s64, s55
	s_mul_hi_u32 s65, s64, s0
	s_add_u32 s55, s55, s66
	s_addc_u32 s65, 0, s65
	s_add_u32 s55, s55, s63
	s_mul_hi_u32 s1, s62, s0
	s_addc_u32 s55, s65, s61
	s_addc_u32 s1, s1, 0
	s_mul_i32 s0, s62, s0
	s_add_u32 s0, s55, s0
	s_addc_u32 s55, 0, s1
	s_add_u32 s61, s64, s0
	s_cselect_b64 s[0:1], -1, 0
	s_cmp_lg_u64 s[0:1], 0
	v_add_co_u32_e32 v3, vcc, v15, v10
	s_addc_u32 s55, s62, s55
	v_xor_b32_e32 v3, v3, v10
	v_mad_u64_u32 v[6:7], s[0:1], v3, s55, 0
	v_mul_hi_u32 v9, v3, s61
	v_addc_co_u32_e32 v8, vcc, v14, v10, vcc
	v_xor_b32_e32 v11, v8, v10
	v_add_co_u32_e32 v12, vcc, v9, v6
	v_addc_co_u32_e32 v13, vcc, 0, v7, vcc
	v_mad_u64_u32 v[6:7], s[0:1], v11, s61, 0
	v_mad_u64_u32 v[8:9], s[0:1], v11, s55, 0
	v_add_co_u32_e32 v6, vcc, v12, v6
	v_addc_co_u32_e32 v6, vcc, v13, v7, vcc
	v_addc_co_u32_e32 v7, vcc, 0, v9, vcc
	v_add_co_u32_e32 v8, vcc, v6, v8
	v_addc_co_u32_e32 v9, vcc, 0, v7, vcc
	v_mul_lo_u32 v12, s57, v8
	v_mul_lo_u32 v13, s56, v9
	v_mad_u64_u32 v[6:7], s[0:1], s56, v8, 0
	v_add3_u32 v7, v7, v13, v12
	v_sub_u32_e32 v12, v11, v7
	v_mov_b32_e32 v13, s57
	v_sub_co_u32_e32 v3, vcc, v3, v6
	v_subb_co_u32_e64 v6, s[0:1], v12, v13, vcc
	v_subrev_co_u32_e64 v12, s[0:1], s56, v3
	v_subbrev_co_u32_e64 v6, s[0:1], 0, v6, s[0:1]
	v_cmp_le_u32_e64 s[0:1], s57, v6
	v_cndmask_b32_e64 v13, 0, -1, s[0:1]
	v_cmp_le_u32_e64 s[0:1], s56, v12
	v_cndmask_b32_e64 v12, 0, -1, s[0:1]
	v_cmp_eq_u32_e64 s[0:1], s57, v6
	v_cndmask_b32_e64 v6, v13, v12, s[0:1]
	v_add_co_u32_e64 v12, s[0:1], 2, v8
	v_subb_co_u32_e32 v7, vcc, v11, v7, vcc
	v_addc_co_u32_e64 v13, s[0:1], 0, v9, s[0:1]
	v_cmp_le_u32_e32 vcc, s57, v7
	v_add_co_u32_e64 v16, s[0:1], 1, v8
	v_cndmask_b32_e64 v11, 0, -1, vcc
	v_cmp_le_u32_e32 vcc, s56, v3
	v_addc_co_u32_e64 v17, s[0:1], 0, v9, s[0:1]
	v_cndmask_b32_e64 v3, 0, -1, vcc
	v_cmp_eq_u32_e32 vcc, s57, v7
	v_cmp_ne_u32_e64 s[0:1], 0, v6
	v_cndmask_b32_e32 v3, v11, v3, vcc
	v_cndmask_b32_e64 v6, v17, v13, s[0:1]
	v_cmp_ne_u32_e32 vcc, 0, v3
	v_cndmask_b32_e32 v3, v9, v6, vcc
	v_cndmask_b32_e64 v6, v16, v12, s[0:1]
	v_cndmask_b32_e32 v6, v8, v6, vcc
	v_xor_b32_e32 v7, s54, v10
	v_xor_b32_e32 v6, v6, v7
	;; [unrolled: 1-line block ×3, first 2 shown]
	v_sub_co_u32_e32 v6, vcc, v6, v7
	v_subb_co_u32_e32 v7, vcc, v3, v7, vcc
.LBB18_5:                               ;   in Loop: Header=BB18_3 Depth=1
	s_andn2_saveexec_b64 s[0:1], s[2:3]
	s_cbranch_execz .LBB18_7
; %bb.6:                                ;   in Loop: Header=BB18_3 Depth=1
	v_cvt_f32_u32_e32 v3, s40
	s_sub_i32 s2, 0, s40
	v_rcp_iflag_f32_e32 v3, v3
	v_mul_f32_e32 v3, 0x4f7ffffe, v3
	v_cvt_u32_f32_e32 v3, v3
	v_mul_lo_u32 v6, s2, v3
	v_mul_hi_u32 v6, v3, v6
	v_add_u32_e32 v3, v3, v6
	v_mul_hi_u32 v3, v15, v3
	v_mul_lo_u32 v6, v3, s40
	v_add_u32_e32 v7, 1, v3
	v_sub_u32_e32 v6, v15, v6
	v_subrev_u32_e32 v8, s40, v6
	v_cmp_le_u32_e32 vcc, s40, v6
	v_cndmask_b32_e32 v6, v6, v8, vcc
	v_cndmask_b32_e32 v3, v3, v7, vcc
	v_add_u32_e32 v7, 1, v3
	v_cmp_le_u32_e32 vcc, s40, v6
	v_cndmask_b32_e32 v6, v3, v7, vcc
	v_mov_b32_e32 v7, v2
.LBB18_7:                               ;   in Loop: Header=BB18_3 Depth=1
	s_or_b64 exec, exec, s[0:1]
	v_or_b32_e32 v3, s43, v7
	v_cmp_ne_u64_e32 vcc, 0, v[2:3]
                                        ; implicit-def: $vgpr8_vgpr9
	s_and_saveexec_b64 s[0:1], vcc
	s_xor_b64 s[54:55], exec, s[0:1]
	s_cbranch_execz .LBB18_9
; %bb.8:                                ;   in Loop: Header=BB18_3 Depth=1
	s_ashr_i32 s0, s43, 31
	s_add_u32 s2, s42, s0
	s_mov_b32 s1, s0
	s_addc_u32 s3, s43, s0
	s_xor_b64 s[56:57], s[2:3], s[0:1]
	v_cvt_f32_u32_e32 v3, s56
	v_cvt_f32_u32_e32 v8, s57
	s_sub_u32 s2, 0, s56
	s_subb_u32 s3, 0, s57
	v_mac_f32_e32 v3, 0x4f800000, v8
	v_rcp_f32_e32 v3, v3
	v_mul_f32_e32 v3, 0x5f7ffffc, v3
	v_mul_f32_e32 v8, 0x2f800000, v3
	v_trunc_f32_e32 v8, v8
	v_mac_f32_e32 v3, 0xcf800000, v8
	v_cvt_u32_f32_e32 v8, v8
	v_cvt_u32_f32_e32 v3, v3
	v_readfirstlane_b32 s61, v8
	v_readfirstlane_b32 s0, v3
	s_mul_i32 s1, s2, s61
	s_mul_hi_u32 s63, s2, s0
	s_mul_i32 s62, s3, s0
	s_add_i32 s1, s63, s1
	s_add_i32 s1, s1, s62
	s_mul_i32 s64, s2, s0
	s_mul_i32 s63, s0, s1
	s_mul_hi_u32 s65, s0, s64
	s_mul_hi_u32 s62, s0, s1
	s_add_u32 s63, s65, s63
	s_addc_u32 s62, 0, s62
	s_mul_hi_u32 s66, s61, s64
	s_mul_i32 s64, s61, s64
	s_add_u32 s63, s63, s64
	s_mul_hi_u32 s65, s61, s1
	s_addc_u32 s62, s62, s66
	s_addc_u32 s63, s65, 0
	s_mul_i32 s1, s61, s1
	s_add_u32 s1, s62, s1
	s_addc_u32 s62, 0, s63
	s_add_u32 s63, s0, s1
	s_cselect_b64 s[0:1], -1, 0
	s_cmp_lg_u64 s[0:1], 0
	s_addc_u32 s61, s61, s62
	s_mul_i32 s0, s2, s61
	s_mul_hi_u32 s1, s2, s63
	s_add_i32 s0, s1, s0
	s_mul_i32 s3, s3, s63
	s_add_i32 s0, s0, s3
	s_mul_i32 s2, s2, s63
	s_mul_hi_u32 s3, s61, s2
	s_mul_i32 s62, s61, s2
	s_mul_i32 s65, s63, s0
	s_mul_hi_u32 s2, s63, s2
	s_mul_hi_u32 s64, s63, s0
	s_add_u32 s2, s2, s65
	s_addc_u32 s64, 0, s64
	s_add_u32 s2, s2, s62
	s_mul_hi_u32 s1, s61, s0
	s_addc_u32 s2, s64, s3
	s_addc_u32 s1, s1, 0
	s_mul_i32 s0, s61, s0
	s_add_u32 s0, s2, s0
	s_addc_u32 s2, 0, s1
	s_add_u32 s3, s63, s0
	s_cselect_b64 s[0:1], -1, 0
	v_ashrrev_i32_e32 v3, 31, v7
	s_cmp_lg_u64 s[0:1], 0
	v_add_co_u32_e32 v8, vcc, v6, v3
	s_addc_u32 s2, s61, s2
	v_xor_b32_e32 v13, v8, v3
	v_mad_u64_u32 v[8:9], s[0:1], v13, s2, 0
	v_mul_hi_u32 v12, v13, s3
	v_addc_co_u32_e32 v11, vcc, v7, v3, vcc
	v_xor_b32_e32 v16, v11, v3
	v_add_co_u32_e32 v17, vcc, v12, v8
	v_addc_co_u32_e32 v18, vcc, 0, v9, vcc
	v_mad_u64_u32 v[8:9], s[0:1], v16, s3, 0
	v_mad_u64_u32 v[11:12], s[0:1], v16, s2, 0
	v_add_co_u32_e32 v8, vcc, v17, v8
	v_addc_co_u32_e32 v8, vcc, v18, v9, vcc
	v_addc_co_u32_e32 v9, vcc, 0, v12, vcc
	v_add_co_u32_e32 v8, vcc, v8, v11
	v_addc_co_u32_e32 v9, vcc, 0, v9, vcc
	v_mul_lo_u32 v11, s57, v8
	v_mul_lo_u32 v12, s56, v9
	v_mad_u64_u32 v[8:9], s[0:1], s56, v8, 0
	v_add3_u32 v9, v9, v12, v11
	v_sub_u32_e32 v11, v16, v9
	v_mov_b32_e32 v12, s57
	v_sub_co_u32_e32 v8, vcc, v13, v8
	v_subb_co_u32_e64 v11, s[0:1], v11, v12, vcc
	v_subrev_co_u32_e64 v13, s[0:1], s56, v8
	v_subbrev_co_u32_e64 v17, s[2:3], 0, v11, s[0:1]
	v_cmp_le_u32_e64 s[2:3], s57, v17
	v_cndmask_b32_e64 v18, 0, -1, s[2:3]
	v_cmp_le_u32_e64 s[2:3], s56, v13
	v_subb_co_u32_e64 v11, s[0:1], v11, v12, s[0:1]
	v_cndmask_b32_e64 v19, 0, -1, s[2:3]
	v_cmp_eq_u32_e64 s[2:3], s57, v17
	v_subrev_co_u32_e64 v12, s[0:1], s56, v13
	v_subb_co_u32_e32 v9, vcc, v16, v9, vcc
	v_cndmask_b32_e64 v18, v18, v19, s[2:3]
	v_subbrev_co_u32_e64 v11, s[0:1], 0, v11, s[0:1]
	v_cmp_le_u32_e32 vcc, s57, v9
	v_cmp_ne_u32_e64 s[0:1], 0, v18
	v_cndmask_b32_e64 v16, 0, -1, vcc
	v_cmp_le_u32_e32 vcc, s56, v8
	v_cndmask_b32_e64 v11, v17, v11, s[0:1]
	v_cndmask_b32_e64 v17, 0, -1, vcc
	v_cmp_eq_u32_e32 vcc, s57, v9
	v_cndmask_b32_e32 v16, v16, v17, vcc
	v_cmp_ne_u32_e32 vcc, 0, v16
	v_cndmask_b32_e32 v9, v9, v11, vcc
	v_cndmask_b32_e64 v11, v13, v12, s[0:1]
	v_cndmask_b32_e32 v8, v8, v11, vcc
	v_xor_b32_e32 v8, v8, v3
	v_xor_b32_e32 v9, v9, v3
	v_sub_co_u32_e32 v8, vcc, v8, v3
	v_subb_co_u32_e32 v9, vcc, v9, v3, vcc
.LBB18_9:                               ;   in Loop: Header=BB18_3 Depth=1
	s_andn2_saveexec_b64 s[0:1], s[54:55]
	s_cbranch_execz .LBB18_11
; %bb.10:                               ;   in Loop: Header=BB18_3 Depth=1
	v_cvt_f32_u32_e32 v3, s42
	s_sub_i32 s2, 0, s42
	v_mov_b32_e32 v9, v2
	v_rcp_iflag_f32_e32 v3, v3
	v_mul_f32_e32 v3, 0x4f7ffffe, v3
	v_cvt_u32_f32_e32 v3, v3
	v_mul_lo_u32 v8, s2, v3
	v_mul_hi_u32 v8, v3, v8
	v_add_u32_e32 v3, v3, v8
	v_mul_hi_u32 v3, v6, v3
	v_mul_lo_u32 v3, v3, s42
	v_sub_u32_e32 v3, v6, v3
	v_subrev_u32_e32 v8, s42, v3
	v_cmp_le_u32_e32 vcc, s42, v3
	v_cndmask_b32_e32 v3, v3, v8, vcc
	v_subrev_u32_e32 v8, s42, v3
	v_cmp_le_u32_e32 vcc, s42, v3
	v_cndmask_b32_e32 v8, v3, v8, vcc
.LBB18_11:                              ;   in Loop: Header=BB18_3 Depth=1
	s_or_b64 exec, exec, s[0:1]
	v_or_b32_e32 v3, s33, v14
	v_cmp_ne_u64_e32 vcc, 0, v[2:3]
                                        ; implicit-def: $vgpr12_vgpr13
	s_and_saveexec_b64 s[0:1], vcc
	s_xor_b64 s[2:3], exec, s[0:1]
	s_cbranch_execz .LBB18_13
; %bb.12:                               ;   in Loop: Header=BB18_3 Depth=1
	s_ashr_i32 s54, s33, 31
	s_add_u32 s0, s58, s54
	s_mov_b32 s55, s54
	s_addc_u32 s1, s33, s54
	s_xor_b64 s[56:57], s[0:1], s[54:55]
	v_cvt_f32_u32_e32 v3, s56
	v_cvt_f32_u32_e32 v11, s57
	s_sub_u32 s55, 0, s56
	s_subb_u32 s61, 0, s57
	v_mac_f32_e32 v3, 0x4f800000, v11
	v_rcp_f32_e32 v3, v3
	v_mul_f32_e32 v3, 0x5f7ffffc, v3
	v_mul_f32_e32 v11, 0x2f800000, v3
	v_trunc_f32_e32 v11, v11
	v_mac_f32_e32 v3, 0xcf800000, v11
	v_cvt_u32_f32_e32 v11, v11
	v_cvt_u32_f32_e32 v3, v3
	v_readfirstlane_b32 s62, v11
	v_readfirstlane_b32 s0, v3
	s_mul_i32 s1, s55, s62
	s_mul_hi_u32 s64, s55, s0
	s_mul_i32 s63, s61, s0
	s_add_i32 s1, s64, s1
	s_add_i32 s1, s1, s63
	s_mul_i32 s65, s55, s0
	s_mul_i32 s64, s0, s1
	s_mul_hi_u32 s66, s0, s65
	s_mul_hi_u32 s63, s0, s1
	s_add_u32 s64, s66, s64
	s_addc_u32 s63, 0, s63
	s_mul_hi_u32 s67, s62, s65
	s_mul_i32 s65, s62, s65
	s_add_u32 s64, s64, s65
	s_mul_hi_u32 s66, s62, s1
	s_addc_u32 s63, s63, s67
	s_addc_u32 s64, s66, 0
	s_mul_i32 s1, s62, s1
	s_add_u32 s1, s63, s1
	s_addc_u32 s63, 0, s64
	s_add_u32 s64, s0, s1
	s_cselect_b64 s[0:1], -1, 0
	s_cmp_lg_u64 s[0:1], 0
	s_addc_u32 s62, s62, s63
	s_mul_i32 s0, s55, s62
	s_mul_hi_u32 s1, s55, s64
	s_add_i32 s0, s1, s0
	s_mul_i32 s61, s61, s64
	s_add_i32 s0, s0, s61
	s_mul_i32 s55, s55, s64
	s_mul_hi_u32 s61, s62, s55
	s_mul_i32 s63, s62, s55
	s_mul_i32 s66, s64, s0
	s_mul_hi_u32 s55, s64, s55
	s_mul_hi_u32 s65, s64, s0
	s_add_u32 s55, s55, s66
	s_addc_u32 s65, 0, s65
	s_add_u32 s55, s55, s63
	s_mul_hi_u32 s1, s62, s0
	s_addc_u32 s55, s65, s61
	s_addc_u32 s1, s1, 0
	s_mul_i32 s0, s62, s0
	s_add_u32 s0, s55, s0
	s_addc_u32 s55, 0, s1
	s_add_u32 s61, s64, s0
	s_cselect_b64 s[0:1], -1, 0
	s_cmp_lg_u64 s[0:1], 0
	v_add_co_u32_e32 v3, vcc, v15, v10
	s_addc_u32 s55, s62, s55
	v_xor_b32_e32 v3, v3, v10
	v_mad_u64_u32 v[11:12], s[0:1], v3, s55, 0
	v_mul_hi_u32 v16, v3, s61
	v_addc_co_u32_e32 v13, vcc, v14, v10, vcc
	v_xor_b32_e32 v13, v13, v10
	v_add_co_u32_e32 v18, vcc, v16, v11
	v_addc_co_u32_e32 v19, vcc, 0, v12, vcc
	v_mad_u64_u32 v[11:12], s[0:1], v13, s61, 0
	v_mad_u64_u32 v[16:17], s[0:1], v13, s55, 0
	v_add_co_u32_e32 v11, vcc, v18, v11
	v_addc_co_u32_e32 v11, vcc, v19, v12, vcc
	v_addc_co_u32_e32 v12, vcc, 0, v17, vcc
	v_add_co_u32_e32 v16, vcc, v11, v16
	v_addc_co_u32_e32 v17, vcc, 0, v12, vcc
	v_mul_lo_u32 v18, s57, v16
	v_mul_lo_u32 v19, s56, v17
	v_mad_u64_u32 v[11:12], s[0:1], s56, v16, 0
	v_xor_b32_e32 v10, s54, v10
	v_add3_u32 v12, v12, v19, v18
	v_sub_u32_e32 v18, v13, v12
	v_mov_b32_e32 v19, s57
	v_sub_co_u32_e32 v3, vcc, v3, v11
	v_subb_co_u32_e64 v11, s[0:1], v18, v19, vcc
	v_subrev_co_u32_e64 v18, s[0:1], s56, v3
	v_subbrev_co_u32_e64 v11, s[0:1], 0, v11, s[0:1]
	v_cmp_le_u32_e64 s[0:1], s57, v11
	v_cndmask_b32_e64 v19, 0, -1, s[0:1]
	v_cmp_le_u32_e64 s[0:1], s56, v18
	v_cndmask_b32_e64 v18, 0, -1, s[0:1]
	v_cmp_eq_u32_e64 s[0:1], s57, v11
	v_cndmask_b32_e64 v11, v19, v18, s[0:1]
	v_add_co_u32_e64 v18, s[0:1], 2, v16
	v_subb_co_u32_e32 v12, vcc, v13, v12, vcc
	v_addc_co_u32_e64 v19, s[0:1], 0, v17, s[0:1]
	v_cmp_le_u32_e32 vcc, s57, v12
	v_add_co_u32_e64 v20, s[0:1], 1, v16
	v_cndmask_b32_e64 v13, 0, -1, vcc
	v_cmp_le_u32_e32 vcc, s56, v3
	v_addc_co_u32_e64 v21, s[0:1], 0, v17, s[0:1]
	v_cndmask_b32_e64 v3, 0, -1, vcc
	v_cmp_eq_u32_e32 vcc, s57, v12
	v_cmp_ne_u32_e64 s[0:1], 0, v11
	v_cndmask_b32_e32 v3, v13, v3, vcc
	v_cndmask_b32_e64 v11, v21, v19, s[0:1]
	v_cmp_ne_u32_e32 vcc, 0, v3
	v_cndmask_b32_e32 v3, v17, v11, vcc
	v_cndmask_b32_e64 v11, v20, v18, s[0:1]
	v_cndmask_b32_e32 v11, v16, v11, vcc
	v_xor_b32_e32 v11, v11, v10
	v_xor_b32_e32 v3, v3, v10
	v_sub_co_u32_e32 v12, vcc, v11, v10
	v_subb_co_u32_e32 v13, vcc, v3, v10, vcc
.LBB18_13:                              ;   in Loop: Header=BB18_3 Depth=1
	s_andn2_saveexec_b64 s[0:1], s[2:3]
	s_cbranch_execz .LBB18_15
; %bb.14:                               ;   in Loop: Header=BB18_3 Depth=1
	v_cvt_f32_u32_e32 v3, s58
	s_sub_i32 s2, 0, s58
	v_mov_b32_e32 v13, v2
	v_rcp_iflag_f32_e32 v3, v3
	v_mul_f32_e32 v3, 0x4f7ffffe, v3
	v_cvt_u32_f32_e32 v3, v3
	v_mul_lo_u32 v10, s2, v3
	v_mul_hi_u32 v10, v3, v10
	v_add_u32_e32 v3, v3, v10
	v_mul_hi_u32 v3, v5, v3
	v_mul_lo_u32 v10, v3, s58
	v_add_u32_e32 v11, 1, v3
	v_sub_u32_e32 v10, v5, v10
	v_subrev_u32_e32 v12, s58, v10
	v_cmp_le_u32_e32 vcc, s58, v10
	v_cndmask_b32_e32 v10, v10, v12, vcc
	v_cndmask_b32_e32 v3, v3, v11, vcc
	v_add_u32_e32 v11, 1, v3
	v_cmp_le_u32_e32 vcc, s58, v10
	v_cndmask_b32_e32 v12, v3, v11, vcc
.LBB18_15:                              ;   in Loop: Header=BB18_3 Depth=1
	s_or_b64 exec, exec, s[0:1]
	v_or_b32_e32 v3, s45, v13
	v_cmp_ne_u64_e32 vcc, 0, v[2:3]
                                        ; implicit-def: $vgpr10_vgpr11
	s_and_saveexec_b64 s[0:1], vcc
	s_xor_b64 s[54:55], exec, s[0:1]
	s_cbranch_execz .LBB18_17
; %bb.16:                               ;   in Loop: Header=BB18_3 Depth=1
	s_ashr_i32 s0, s45, 31
	s_add_u32 s2, s44, s0
	s_mov_b32 s1, s0
	s_addc_u32 s3, s45, s0
	s_xor_b64 s[56:57], s[2:3], s[0:1]
	v_cvt_f32_u32_e32 v3, s56
	v_cvt_f32_u32_e32 v10, s57
	s_sub_u32 s2, 0, s56
	s_subb_u32 s3, 0, s57
	v_mac_f32_e32 v3, 0x4f800000, v10
	v_rcp_f32_e32 v3, v3
	v_mul_f32_e32 v3, 0x5f7ffffc, v3
	v_mul_f32_e32 v10, 0x2f800000, v3
	v_trunc_f32_e32 v10, v10
	v_mac_f32_e32 v3, 0xcf800000, v10
	v_cvt_u32_f32_e32 v10, v10
	v_cvt_u32_f32_e32 v3, v3
	v_readfirstlane_b32 s61, v10
	v_readfirstlane_b32 s0, v3
	s_mul_i32 s1, s2, s61
	s_mul_hi_u32 s63, s2, s0
	s_mul_i32 s62, s3, s0
	s_add_i32 s1, s63, s1
	s_add_i32 s1, s1, s62
	s_mul_i32 s64, s2, s0
	s_mul_i32 s63, s0, s1
	s_mul_hi_u32 s65, s0, s64
	s_mul_hi_u32 s62, s0, s1
	s_add_u32 s63, s65, s63
	s_addc_u32 s62, 0, s62
	s_mul_hi_u32 s66, s61, s64
	s_mul_i32 s64, s61, s64
	s_add_u32 s63, s63, s64
	s_mul_hi_u32 s65, s61, s1
	s_addc_u32 s62, s62, s66
	s_addc_u32 s63, s65, 0
	s_mul_i32 s1, s61, s1
	s_add_u32 s1, s62, s1
	s_addc_u32 s62, 0, s63
	s_add_u32 s63, s0, s1
	s_cselect_b64 s[0:1], -1, 0
	s_cmp_lg_u64 s[0:1], 0
	s_addc_u32 s61, s61, s62
	s_mul_i32 s0, s2, s61
	s_mul_hi_u32 s1, s2, s63
	s_add_i32 s0, s1, s0
	s_mul_i32 s3, s3, s63
	s_add_i32 s0, s0, s3
	s_mul_i32 s2, s2, s63
	s_mul_hi_u32 s3, s61, s2
	s_mul_i32 s62, s61, s2
	s_mul_i32 s65, s63, s0
	s_mul_hi_u32 s2, s63, s2
	s_mul_hi_u32 s64, s63, s0
	s_add_u32 s2, s2, s65
	s_addc_u32 s64, 0, s64
	s_add_u32 s2, s2, s62
	s_mul_hi_u32 s1, s61, s0
	s_addc_u32 s2, s64, s3
	s_addc_u32 s1, s1, 0
	s_mul_i32 s0, s61, s0
	s_add_u32 s0, s2, s0
	s_addc_u32 s2, 0, s1
	s_add_u32 s3, s63, s0
	s_cselect_b64 s[0:1], -1, 0
	v_ashrrev_i32_e32 v3, 31, v13
	s_cmp_lg_u64 s[0:1], 0
	v_add_co_u32_e32 v10, vcc, v12, v3
	s_addc_u32 s2, s61, s2
	v_xor_b32_e32 v16, v10, v3
	v_addc_co_u32_e32 v12, vcc, v13, v3, vcc
	v_mad_u64_u32 v[10:11], s[0:1], v16, s2, 0
	v_mul_hi_u32 v13, v16, s3
	v_xor_b32_e32 v17, v12, v3
	v_add_co_u32_e32 v18, vcc, v13, v10
	v_addc_co_u32_e32 v19, vcc, 0, v11, vcc
	v_mad_u64_u32 v[10:11], s[0:1], v17, s3, 0
	v_mad_u64_u32 v[12:13], s[0:1], v17, s2, 0
	v_add_co_u32_e32 v10, vcc, v18, v10
	v_addc_co_u32_e32 v10, vcc, v19, v11, vcc
	v_addc_co_u32_e32 v11, vcc, 0, v13, vcc
	v_add_co_u32_e32 v10, vcc, v10, v12
	v_addc_co_u32_e32 v11, vcc, 0, v11, vcc
	v_mul_lo_u32 v12, s57, v10
	v_mul_lo_u32 v13, s56, v11
	v_mad_u64_u32 v[10:11], s[0:1], s56, v10, 0
	v_add3_u32 v11, v11, v13, v12
	v_sub_u32_e32 v12, v17, v11
	v_mov_b32_e32 v13, s57
	v_sub_co_u32_e32 v10, vcc, v16, v10
	v_subb_co_u32_e64 v12, s[0:1], v12, v13, vcc
	v_subrev_co_u32_e64 v16, s[0:1], s56, v10
	v_subbrev_co_u32_e64 v18, s[2:3], 0, v12, s[0:1]
	v_cmp_le_u32_e64 s[2:3], s57, v18
	v_cndmask_b32_e64 v19, 0, -1, s[2:3]
	v_cmp_le_u32_e64 s[2:3], s56, v16
	v_subb_co_u32_e64 v12, s[0:1], v12, v13, s[0:1]
	v_cndmask_b32_e64 v20, 0, -1, s[2:3]
	v_cmp_eq_u32_e64 s[2:3], s57, v18
	v_subrev_co_u32_e64 v13, s[0:1], s56, v16
	v_subb_co_u32_e32 v11, vcc, v17, v11, vcc
	v_cndmask_b32_e64 v19, v19, v20, s[2:3]
	v_subbrev_co_u32_e64 v12, s[0:1], 0, v12, s[0:1]
	v_cmp_le_u32_e32 vcc, s57, v11
	v_cmp_ne_u32_e64 s[0:1], 0, v19
	v_cndmask_b32_e64 v17, 0, -1, vcc
	v_cmp_le_u32_e32 vcc, s56, v10
	v_cndmask_b32_e64 v12, v18, v12, s[0:1]
	v_cndmask_b32_e64 v18, 0, -1, vcc
	v_cmp_eq_u32_e32 vcc, s57, v11
	v_cndmask_b32_e32 v17, v17, v18, vcc
	v_cmp_ne_u32_e32 vcc, 0, v17
	v_cndmask_b32_e32 v11, v11, v12, vcc
	v_cndmask_b32_e64 v12, v16, v13, s[0:1]
	v_cndmask_b32_e32 v10, v10, v12, vcc
	v_xor_b32_e32 v10, v10, v3
	v_xor_b32_e32 v11, v11, v3
	v_sub_co_u32_e32 v10, vcc, v10, v3
	v_subb_co_u32_e32 v11, vcc, v11, v3, vcc
                                        ; implicit-def: $vgpr12_vgpr13
.LBB18_17:                              ;   in Loop: Header=BB18_3 Depth=1
	s_andn2_saveexec_b64 s[0:1], s[54:55]
	s_cbranch_execz .LBB18_19
; %bb.18:                               ;   in Loop: Header=BB18_3 Depth=1
	v_cvt_f32_u32_e32 v3, s44
	s_sub_i32 s2, 0, s44
	v_mov_b32_e32 v11, v2
	v_rcp_iflag_f32_e32 v3, v3
	v_mul_f32_e32 v3, 0x4f7ffffe, v3
	v_cvt_u32_f32_e32 v3, v3
	v_mul_lo_u32 v10, s2, v3
	v_mul_hi_u32 v10, v3, v10
	v_add_u32_e32 v3, v3, v10
	v_mul_hi_u32 v3, v12, v3
	v_mul_lo_u32 v3, v3, s44
	v_sub_u32_e32 v3, v12, v3
	v_subrev_u32_e32 v10, s44, v3
	v_cmp_le_u32_e32 vcc, s44, v3
	v_cndmask_b32_e32 v3, v3, v10, vcc
	v_subrev_u32_e32 v10, s44, v3
	v_cmp_le_u32_e32 vcc, s44, v3
	v_cndmask_b32_e32 v10, v3, v10, vcc
.LBB18_19:                              ;   in Loop: Header=BB18_3 Depth=1
	s_or_b64 exec, exec, s[0:1]
	v_mul_lo_u32 v3, v7, s40
	v_mul_lo_u32 v12, v6, s41
	v_mad_u64_u32 v[6:7], s[0:1], v6, s40, 0
	v_mul_lo_u32 v16, s11, v8
	v_mul_lo_u32 v17, s10, v9
	v_add3_u32 v7, v7, v12, v3
	v_sub_co_u32_e32 v3, vcc, v15, v6
	v_subb_co_u32_e32 v12, vcc, v14, v7, vcc
	v_mul_lo_u32 v13, s9, v3
	v_mul_lo_u32 v14, s8, v12
	v_mad_u64_u32 v[6:7], s[0:1], s8, v3, 0
	v_mov_b32_e32 v15, s7
	s_mov_b64 s[2:3], -1
	v_add3_u32 v7, v7, v14, v13
	v_mad_u64_u32 v[13:14], s[0:1], s10, v8, 0
	v_lshlrev_b64 v[6:7], 3, v[6:7]
	s_mov_b64 s[56:57], -1
	v_add_co_u32_e32 v18, vcc, s6, v6
	v_add3_u32 v14, v14, v17, v16
	v_addc_co_u32_e32 v15, vcc, v15, v7, vcc
	v_lshlrev_b64 v[6:7], 3, v[13:14]
	v_mul_lo_u32 v16, s13, v10
	v_mul_lo_u32 v17, s12, v11
	v_mad_u64_u32 v[13:14], s[0:1], s12, v10, 0
	v_add_co_u32_e32 v18, vcc, v18, v6
	v_add3_u32 v14, v14, v17, v16
	v_addc_co_u32_e32 v15, vcc, v15, v7, vcc
	v_lshlrev_b64 v[6:7], 3, v[13:14]
	v_add_co_u32_e32 v6, vcc, v18, v6
	v_addc_co_u32_e32 v7, vcc, v15, v7, vcc
	global_load_dwordx2 v[6:7], v[6:7], off
	s_waitcnt vmcnt(0)
	v_cmp_ne_u64_e32 vcc, s[38:39], v[6:7]
	s_and_saveexec_b64 s[54:55], vcc
	s_cbranch_execz .LBB18_26
; %bb.20:                               ;   in Loop: Header=BB18_3 Depth=1
	v_cmp_lt_i64_e32 vcc, -1, v[6:7]
	v_cmp_gt_i64_e64 s[0:1], s[46:47], v[6:7]
	s_mov_b64 s[56:57], 0
	s_and_b64 s[62:63], vcc, s[0:1]
	s_and_saveexec_b64 s[0:1], s[62:63]
	s_cbranch_execz .LBB18_25
; %bb.21:                               ;   in Loop: Header=BB18_3 Depth=1
	s_andn2_b64 vcc, exec, s[50:51]
	s_cbranch_vccnz .LBB18_23
; %bb.22:                               ;   in Loop: Header=BB18_3 Depth=1
	v_lshlrev_b64 v[13:14], 1, v[6:7]
	v_mov_b32_e32 v15, s37
	v_add_co_u32_e32 v13, vcc, s36, v13
	v_addc_co_u32_e32 v14, vcc, v15, v14, vcc
	global_load_ushort v13, v[13:14], off
	s_branch .LBB18_24
.LBB18_23:                              ;   in Loop: Header=BB18_3 Depth=1
	v_mov_b32_e32 v13, 0x3c00
.LBB18_24:                              ;   in Loop: Header=BB18_3 Depth=1
	s_waitcnt lgkmcnt(0)
	v_mul_lo_u32 v16, s17, v3
	v_mul_lo_u32 v17, s16, v12
	v_mad_u64_u32 v[14:15], s[62:63], s16, v3, 0
	v_mul_lo_u32 v19, s19, v8
	v_mul_lo_u32 v20, s18, v9
	v_add3_u32 v15, v15, v17, v16
	v_mad_u64_u32 v[16:17], s[62:63], s18, v8, 0
	v_lshlrev_b64 v[14:15], 1, v[14:15]
	v_mov_b32_e32 v18, s15
	v_add_co_u32_e32 v21, vcc, s14, v14
	v_add3_u32 v17, v17, v20, v19
	v_addc_co_u32_e32 v18, vcc, v18, v15, vcc
	v_lshlrev_b64 v[14:15], 1, v[16:17]
	v_mul_lo_u32 v19, s21, v10
	v_mul_lo_u32 v20, s20, v11
	v_mad_u64_u32 v[16:17], s[62:63], s20, v10, 0
	v_add_co_u32_e32 v21, vcc, v21, v14
	v_add3_u32 v17, v17, v20, v19
	v_addc_co_u32_e32 v18, vcc, v18, v15, vcc
	v_lshlrev_b64 v[14:15], 1, v[16:17]
	v_mul_lo_u32 v17, s25, v3
	v_add_co_u32_e32 v14, vcc, v21, v14
	v_addc_co_u32_e32 v15, vcc, v18, v15, vcc
	global_load_ushort v16, v[14:15], off
	v_mul_lo_u32 v12, s24, v12
	v_mad_u64_u32 v[14:15], s[62:63], s24, v3, 0
	v_mul_lo_u32 v18, s27, v6
	v_mul_lo_u32 v19, s26, v7
	v_mad_u64_u32 v[6:7], s[62:63], s26, v6, 0
	v_mul_lo_u32 v20, s29, v8
	v_mul_lo_u32 v21, s28, v9
	v_mad_u64_u32 v[8:9], s[62:63], s28, v8, 0
	v_add3_u32 v15, v15, v12, v17
	v_lshlrev_b64 v[14:15], 1, v[14:15]
	v_mul_lo_u32 v22, s31, v10
	v_mul_lo_u32 v23, s30, v11
	v_mad_u64_u32 v[10:11], s[62:63], s30, v10, 0
	v_add3_u32 v7, v7, v19, v18
	v_mov_b32_e32 v3, s23
	v_lshlrev_b64 v[6:7], 1, v[6:7]
	v_add_co_u32_e32 v12, vcc, s22, v14
	v_add3_u32 v9, v9, v21, v20
	v_addc_co_u32_e32 v3, vcc, v3, v15, vcc
	v_lshlrev_b64 v[8:9], 1, v[8:9]
	v_add_co_u32_e32 v6, vcc, v12, v6
	v_add3_u32 v11, v11, v23, v22
	v_addc_co_u32_e32 v3, vcc, v3, v7, vcc
	v_lshlrev_b64 v[10:11], 1, v[10:11]
	v_add_co_u32_e32 v6, vcc, v6, v8
	v_addc_co_u32_e32 v3, vcc, v3, v9, vcc
	v_add_co_u32_e32 v6, vcc, v6, v10
	v_addc_co_u32_e32 v7, vcc, v3, v11, vcc
	s_mov_b64 s[56:57], exec
	s_waitcnt vmcnt(0)
	v_mul_f16_e64 v8, v16, -v13
	global_store_short v[6:7], v8, off
.LBB18_25:                              ;   in Loop: Header=BB18_3 Depth=1
	s_or_b64 exec, exec, s[0:1]
	s_orn2_b64 s[56:57], s[56:57], exec
.LBB18_26:                              ;   in Loop: Header=BB18_3 Depth=1
	s_or_b64 exec, exec, s[54:55]
	s_or_b64 s[52:53], s[52:53], exec
	s_and_saveexec_b64 s[0:1], s[56:57]
	s_cbranch_execz .LBB18_2
; %bb.27:                               ;   in Loop: Header=BB18_3 Depth=1
	v_add_co_u32_e32 v0, vcc, s59, v0
	v_addc_co_u32_e32 v1, vcc, 0, v1, vcc
	v_mov_b32_e32 v3, s60
	v_add_co_u32_e32 v4, vcc, 0, v4
	v_addc_co_u32_e32 v5, vcc, v5, v3, vcc
	v_cmp_le_i64_e32 vcc, s[34:35], v[0:1]
	s_andn2_b64 s[52:53], s[52:53], exec
	s_orn2_b64 s[2:3], vcc, exec
	s_branch .LBB18_2
.LBB18_28:
	s_or_b64 exec, exec, s[48:49]
	s_and_saveexec_b64 s[0:1], s[4:5]
	s_xor_b64 s[0:1], exec, s[0:1]
	s_cbranch_execnz .LBB18_30
.LBB18_29:
	s_endpgm
.LBB18_30:
	s_trap 2
	; divergent unreachable
	s_endpgm
	.section	.rodata,"a",@progbits
	.p2align	6, 0x0
	.amdhsa_kernel _ZN2at6native12_GLOBAL__N_136nll_loss2d_backward_no_reduce_kernelIN3c104HalfEEEvlN5torch10headeronly6detail27GenericPackedTensorAccessorINS7_14TensorAccessorINS3_8ArrayRefIlEElLm2ENS6_16DefaultPtrTraitsElEENS_6detail16IndexBoundsCheckILm3ElEElLm3ESC_lEENS8_INS9_ISB_T_Lm2ESC_lEESG_SI_Lm3ESC_lEENS8_INS9_ISB_SI_Lm3ESC_lEENSF_ILm4ElEESI_Lm4ESC_lEEPKSI_l
		.amdhsa_group_segment_fixed_size 0
		.amdhsa_private_segment_fixed_size 0
		.amdhsa_kernarg_size 464
		.amdhsa_user_sgpr_count 6
		.amdhsa_user_sgpr_private_segment_buffer 1
		.amdhsa_user_sgpr_dispatch_ptr 0
		.amdhsa_user_sgpr_queue_ptr 0
		.amdhsa_user_sgpr_kernarg_segment_ptr 1
		.amdhsa_user_sgpr_dispatch_id 0
		.amdhsa_user_sgpr_flat_scratch_init 0
		.amdhsa_user_sgpr_private_segment_size 0
		.amdhsa_uses_dynamic_stack 0
		.amdhsa_system_sgpr_private_segment_wavefront_offset 0
		.amdhsa_system_sgpr_workgroup_id_x 1
		.amdhsa_system_sgpr_workgroup_id_y 0
		.amdhsa_system_sgpr_workgroup_id_z 0
		.amdhsa_system_sgpr_workgroup_info 0
		.amdhsa_system_vgpr_workitem_id 0
		.amdhsa_next_free_vgpr 24
		.amdhsa_next_free_sgpr 68
		.amdhsa_reserve_vcc 1
		.amdhsa_reserve_flat_scratch 0
		.amdhsa_float_round_mode_32 0
		.amdhsa_float_round_mode_16_64 0
		.amdhsa_float_denorm_mode_32 3
		.amdhsa_float_denorm_mode_16_64 3
		.amdhsa_dx10_clamp 1
		.amdhsa_ieee_mode 1
		.amdhsa_fp16_overflow 0
		.amdhsa_exception_fp_ieee_invalid_op 0
		.amdhsa_exception_fp_denorm_src 0
		.amdhsa_exception_fp_ieee_div_zero 0
		.amdhsa_exception_fp_ieee_overflow 0
		.amdhsa_exception_fp_ieee_underflow 0
		.amdhsa_exception_fp_ieee_inexact 0
		.amdhsa_exception_int_div_zero 0
	.end_amdhsa_kernel
	.section	.text._ZN2at6native12_GLOBAL__N_136nll_loss2d_backward_no_reduce_kernelIN3c104HalfEEEvlN5torch10headeronly6detail27GenericPackedTensorAccessorINS7_14TensorAccessorINS3_8ArrayRefIlEElLm2ENS6_16DefaultPtrTraitsElEENS_6detail16IndexBoundsCheckILm3ElEElLm3ESC_lEENS8_INS9_ISB_T_Lm2ESC_lEESG_SI_Lm3ESC_lEENS8_INS9_ISB_SI_Lm3ESC_lEENSF_ILm4ElEESI_Lm4ESC_lEEPKSI_l,"axG",@progbits,_ZN2at6native12_GLOBAL__N_136nll_loss2d_backward_no_reduce_kernelIN3c104HalfEEEvlN5torch10headeronly6detail27GenericPackedTensorAccessorINS7_14TensorAccessorINS3_8ArrayRefIlEElLm2ENS6_16DefaultPtrTraitsElEENS_6detail16IndexBoundsCheckILm3ElEElLm3ESC_lEENS8_INS9_ISB_T_Lm2ESC_lEESG_SI_Lm3ESC_lEENS8_INS9_ISB_SI_Lm3ESC_lEENSF_ILm4ElEESI_Lm4ESC_lEEPKSI_l,comdat
.Lfunc_end18:
	.size	_ZN2at6native12_GLOBAL__N_136nll_loss2d_backward_no_reduce_kernelIN3c104HalfEEEvlN5torch10headeronly6detail27GenericPackedTensorAccessorINS7_14TensorAccessorINS3_8ArrayRefIlEElLm2ENS6_16DefaultPtrTraitsElEENS_6detail16IndexBoundsCheckILm3ElEElLm3ESC_lEENS8_INS9_ISB_T_Lm2ESC_lEESG_SI_Lm3ESC_lEENS8_INS9_ISB_SI_Lm3ESC_lEENSF_ILm4ElEESI_Lm4ESC_lEEPKSI_l, .Lfunc_end18-_ZN2at6native12_GLOBAL__N_136nll_loss2d_backward_no_reduce_kernelIN3c104HalfEEEvlN5torch10headeronly6detail27GenericPackedTensorAccessorINS7_14TensorAccessorINS3_8ArrayRefIlEElLm2ENS6_16DefaultPtrTraitsElEENS_6detail16IndexBoundsCheckILm3ElEElLm3ESC_lEENS8_INS9_ISB_T_Lm2ESC_lEESG_SI_Lm3ESC_lEENS8_INS9_ISB_SI_Lm3ESC_lEENSF_ILm4ElEESI_Lm4ESC_lEEPKSI_l
                                        ; -- End function
	.set _ZN2at6native12_GLOBAL__N_136nll_loss2d_backward_no_reduce_kernelIN3c104HalfEEEvlN5torch10headeronly6detail27GenericPackedTensorAccessorINS7_14TensorAccessorINS3_8ArrayRefIlEElLm2ENS6_16DefaultPtrTraitsElEENS_6detail16IndexBoundsCheckILm3ElEElLm3ESC_lEENS8_INS9_ISB_T_Lm2ESC_lEESG_SI_Lm3ESC_lEENS8_INS9_ISB_SI_Lm3ESC_lEENSF_ILm4ElEESI_Lm4ESC_lEEPKSI_l.num_vgpr, 24
	.set _ZN2at6native12_GLOBAL__N_136nll_loss2d_backward_no_reduce_kernelIN3c104HalfEEEvlN5torch10headeronly6detail27GenericPackedTensorAccessorINS7_14TensorAccessorINS3_8ArrayRefIlEElLm2ENS6_16DefaultPtrTraitsElEENS_6detail16IndexBoundsCheckILm3ElEElLm3ESC_lEENS8_INS9_ISB_T_Lm2ESC_lEESG_SI_Lm3ESC_lEENS8_INS9_ISB_SI_Lm3ESC_lEENSF_ILm4ElEESI_Lm4ESC_lEEPKSI_l.num_agpr, 0
	.set _ZN2at6native12_GLOBAL__N_136nll_loss2d_backward_no_reduce_kernelIN3c104HalfEEEvlN5torch10headeronly6detail27GenericPackedTensorAccessorINS7_14TensorAccessorINS3_8ArrayRefIlEElLm2ENS6_16DefaultPtrTraitsElEENS_6detail16IndexBoundsCheckILm3ElEElLm3ESC_lEENS8_INS9_ISB_T_Lm2ESC_lEESG_SI_Lm3ESC_lEENS8_INS9_ISB_SI_Lm3ESC_lEENSF_ILm4ElEESI_Lm4ESC_lEEPKSI_l.numbered_sgpr, 68
	.set _ZN2at6native12_GLOBAL__N_136nll_loss2d_backward_no_reduce_kernelIN3c104HalfEEEvlN5torch10headeronly6detail27GenericPackedTensorAccessorINS7_14TensorAccessorINS3_8ArrayRefIlEElLm2ENS6_16DefaultPtrTraitsElEENS_6detail16IndexBoundsCheckILm3ElEElLm3ESC_lEENS8_INS9_ISB_T_Lm2ESC_lEESG_SI_Lm3ESC_lEENS8_INS9_ISB_SI_Lm3ESC_lEENSF_ILm4ElEESI_Lm4ESC_lEEPKSI_l.num_named_barrier, 0
	.set _ZN2at6native12_GLOBAL__N_136nll_loss2d_backward_no_reduce_kernelIN3c104HalfEEEvlN5torch10headeronly6detail27GenericPackedTensorAccessorINS7_14TensorAccessorINS3_8ArrayRefIlEElLm2ENS6_16DefaultPtrTraitsElEENS_6detail16IndexBoundsCheckILm3ElEElLm3ESC_lEENS8_INS9_ISB_T_Lm2ESC_lEESG_SI_Lm3ESC_lEENS8_INS9_ISB_SI_Lm3ESC_lEENSF_ILm4ElEESI_Lm4ESC_lEEPKSI_l.private_seg_size, 0
	.set _ZN2at6native12_GLOBAL__N_136nll_loss2d_backward_no_reduce_kernelIN3c104HalfEEEvlN5torch10headeronly6detail27GenericPackedTensorAccessorINS7_14TensorAccessorINS3_8ArrayRefIlEElLm2ENS6_16DefaultPtrTraitsElEENS_6detail16IndexBoundsCheckILm3ElEElLm3ESC_lEENS8_INS9_ISB_T_Lm2ESC_lEESG_SI_Lm3ESC_lEENS8_INS9_ISB_SI_Lm3ESC_lEENSF_ILm4ElEESI_Lm4ESC_lEEPKSI_l.uses_vcc, 1
	.set _ZN2at6native12_GLOBAL__N_136nll_loss2d_backward_no_reduce_kernelIN3c104HalfEEEvlN5torch10headeronly6detail27GenericPackedTensorAccessorINS7_14TensorAccessorINS3_8ArrayRefIlEElLm2ENS6_16DefaultPtrTraitsElEENS_6detail16IndexBoundsCheckILm3ElEElLm3ESC_lEENS8_INS9_ISB_T_Lm2ESC_lEESG_SI_Lm3ESC_lEENS8_INS9_ISB_SI_Lm3ESC_lEENSF_ILm4ElEESI_Lm4ESC_lEEPKSI_l.uses_flat_scratch, 0
	.set _ZN2at6native12_GLOBAL__N_136nll_loss2d_backward_no_reduce_kernelIN3c104HalfEEEvlN5torch10headeronly6detail27GenericPackedTensorAccessorINS7_14TensorAccessorINS3_8ArrayRefIlEElLm2ENS6_16DefaultPtrTraitsElEENS_6detail16IndexBoundsCheckILm3ElEElLm3ESC_lEENS8_INS9_ISB_T_Lm2ESC_lEESG_SI_Lm3ESC_lEENS8_INS9_ISB_SI_Lm3ESC_lEENSF_ILm4ElEESI_Lm4ESC_lEEPKSI_l.has_dyn_sized_stack, 0
	.set _ZN2at6native12_GLOBAL__N_136nll_loss2d_backward_no_reduce_kernelIN3c104HalfEEEvlN5torch10headeronly6detail27GenericPackedTensorAccessorINS7_14TensorAccessorINS3_8ArrayRefIlEElLm2ENS6_16DefaultPtrTraitsElEENS_6detail16IndexBoundsCheckILm3ElEElLm3ESC_lEENS8_INS9_ISB_T_Lm2ESC_lEESG_SI_Lm3ESC_lEENS8_INS9_ISB_SI_Lm3ESC_lEENSF_ILm4ElEESI_Lm4ESC_lEEPKSI_l.has_recursion, 0
	.set _ZN2at6native12_GLOBAL__N_136nll_loss2d_backward_no_reduce_kernelIN3c104HalfEEEvlN5torch10headeronly6detail27GenericPackedTensorAccessorINS7_14TensorAccessorINS3_8ArrayRefIlEElLm2ENS6_16DefaultPtrTraitsElEENS_6detail16IndexBoundsCheckILm3ElEElLm3ESC_lEENS8_INS9_ISB_T_Lm2ESC_lEESG_SI_Lm3ESC_lEENS8_INS9_ISB_SI_Lm3ESC_lEENSF_ILm4ElEESI_Lm4ESC_lEEPKSI_l.has_indirect_call, 0
	.section	.AMDGPU.csdata,"",@progbits
; Kernel info:
; codeLenInByte = 3912
; TotalNumSgprs: 72
; NumVgprs: 24
; ScratchSize: 0
; MemoryBound: 0
; FloatMode: 240
; IeeeMode: 1
; LDSByteSize: 0 bytes/workgroup (compile time only)
; SGPRBlocks: 8
; VGPRBlocks: 5
; NumSGPRsForWavesPerEU: 72
; NumVGPRsForWavesPerEU: 24
; Occupancy: 10
; WaveLimiterHint : 1
; COMPUTE_PGM_RSRC2:SCRATCH_EN: 0
; COMPUTE_PGM_RSRC2:USER_SGPR: 6
; COMPUTE_PGM_RSRC2:TRAP_HANDLER: 0
; COMPUTE_PGM_RSRC2:TGID_X_EN: 1
; COMPUTE_PGM_RSRC2:TGID_Y_EN: 0
; COMPUTE_PGM_RSRC2:TGID_Z_EN: 0
; COMPUTE_PGM_RSRC2:TIDIG_COMP_CNT: 0
	.section	.text._ZN2at6native12_GLOBAL__N_136nll_loss2d_backward_no_reduce_kernelIN3c108BFloat16EEEvlN5torch10headeronly6detail27GenericPackedTensorAccessorINS7_14TensorAccessorINS3_8ArrayRefIlEElLm2ENS6_16DefaultPtrTraitsElEENS_6detail16IndexBoundsCheckILm3ElEElLm3ESC_lEENS8_INS9_ISB_T_Lm2ESC_lEESG_SI_Lm3ESC_lEENS8_INS9_ISB_SI_Lm3ESC_lEENSF_ILm4ElEESI_Lm4ESC_lEEPKSI_l,"axG",@progbits,_ZN2at6native12_GLOBAL__N_136nll_loss2d_backward_no_reduce_kernelIN3c108BFloat16EEEvlN5torch10headeronly6detail27GenericPackedTensorAccessorINS7_14TensorAccessorINS3_8ArrayRefIlEElLm2ENS6_16DefaultPtrTraitsElEENS_6detail16IndexBoundsCheckILm3ElEElLm3ESC_lEENS8_INS9_ISB_T_Lm2ESC_lEESG_SI_Lm3ESC_lEENS8_INS9_ISB_SI_Lm3ESC_lEENSF_ILm4ElEESI_Lm4ESC_lEEPKSI_l,comdat
	.globl	_ZN2at6native12_GLOBAL__N_136nll_loss2d_backward_no_reduce_kernelIN3c108BFloat16EEEvlN5torch10headeronly6detail27GenericPackedTensorAccessorINS7_14TensorAccessorINS3_8ArrayRefIlEElLm2ENS6_16DefaultPtrTraitsElEENS_6detail16IndexBoundsCheckILm3ElEElLm3ESC_lEENS8_INS9_ISB_T_Lm2ESC_lEESG_SI_Lm3ESC_lEENS8_INS9_ISB_SI_Lm3ESC_lEENSF_ILm4ElEESI_Lm4ESC_lEEPKSI_l ; -- Begin function _ZN2at6native12_GLOBAL__N_136nll_loss2d_backward_no_reduce_kernelIN3c108BFloat16EEEvlN5torch10headeronly6detail27GenericPackedTensorAccessorINS7_14TensorAccessorINS3_8ArrayRefIlEElLm2ENS6_16DefaultPtrTraitsElEENS_6detail16IndexBoundsCheckILm3ElEElLm3ESC_lEENS8_INS9_ISB_T_Lm2ESC_lEESG_SI_Lm3ESC_lEENS8_INS9_ISB_SI_Lm3ESC_lEENSF_ILm4ElEESI_Lm4ESC_lEEPKSI_l
	.p2align	8
	.type	_ZN2at6native12_GLOBAL__N_136nll_loss2d_backward_no_reduce_kernelIN3c108BFloat16EEEvlN5torch10headeronly6detail27GenericPackedTensorAccessorINS7_14TensorAccessorINS3_8ArrayRefIlEElLm2ENS6_16DefaultPtrTraitsElEENS_6detail16IndexBoundsCheckILm3ElEElLm3ESC_lEENS8_INS9_ISB_T_Lm2ESC_lEESG_SI_Lm3ESC_lEENS8_INS9_ISB_SI_Lm3ESC_lEENSF_ILm4ElEESI_Lm4ESC_lEEPKSI_l,@function
_ZN2at6native12_GLOBAL__N_136nll_loss2d_backward_no_reduce_kernelIN3c108BFloat16EEEvlN5torch10headeronly6detail27GenericPackedTensorAccessorINS7_14TensorAccessorINS3_8ArrayRefIlEElLm2ENS6_16DefaultPtrTraitsElEENS_6detail16IndexBoundsCheckILm3ElEElLm3ESC_lEENS8_INS9_ISB_T_Lm2ESC_lEESG_SI_Lm3ESC_lEENS8_INS9_ISB_SI_Lm3ESC_lEENSF_ILm4ElEESI_Lm4ESC_lEEPKSI_l: ; @_ZN2at6native12_GLOBAL__N_136nll_loss2d_backward_no_reduce_kernelIN3c108BFloat16EEEvlN5torch10headeronly6detail27GenericPackedTensorAccessorINS7_14TensorAccessorINS3_8ArrayRefIlEElLm2ENS6_16DefaultPtrTraitsElEENS_6detail16IndexBoundsCheckILm3ElEElLm3ESC_lEENS8_INS9_ISB_T_Lm2ESC_lEESG_SI_Lm3ESC_lEENS8_INS9_ISB_SI_Lm3ESC_lEENSF_ILm4ElEESI_Lm4ESC_lEEPKSI_l
; %bb.0:
	s_load_dword s2, s[4:5], 0xdc
	s_load_dwordx2 s[34:35], s[4:5], 0x0
	s_add_u32 s0, s4, 0xd0
	v_mov_b32_e32 v2, 0
	s_addc_u32 s1, s5, 0
	s_waitcnt lgkmcnt(0)
	s_and_b32 s2, s2, 0xffff
	v_mov_b32_e32 v1, v2
	v_mov_b32_e32 v3, s6
	v_mad_u64_u32 v[0:1], s[6:7], s2, v3, v[0:1]
	v_cmp_gt_i64_e32 vcc, s[34:35], v[0:1]
	s_and_saveexec_b64 s[6:7], vcc
	s_cbranch_execz .LBB19_29
; %bb.1:
	s_load_dwordx4 s[36:39], s[4:5], 0xc0
	s_load_dwordx2 s[6:7], s[4:5], 0x8
	s_load_dwordx4 s[40:43], s[4:5], 0x10
	s_load_dwordx2 s[44:45], s[4:5], 0x20
	s_load_dwordx8 s[8:15], s[4:5], 0x28
	s_load_dwordx2 s[46:47], s[4:5], 0x88
	s_load_dword s3, s[0:1], 0x0
	s_waitcnt lgkmcnt(0)
	s_mul_i32 s0, s42, s41
	s_mul_hi_u32 s1, s42, s40
	s_load_dwordx8 s[16:23], s[4:5], 0x60
	s_load_dwordx8 s[24:31], s[4:5], 0xa0
	s_add_i32 s0, s1, s0
	s_mul_i32 s1, s43, s40
	s_add_i32 s33, s0, s1
	v_mov_b32_e32 v3, v0
	s_cmp_lg_u64 s[36:37], 0
	s_mul_i32 s61, s3, s2
	v_mov_b32_e32 v5, v3
	s_mul_i32 s60, s42, s40
	s_mov_b64 s[48:49], 0
	s_cselect_b64 s[50:51], -1, 0
	s_mov_b32 s62, s61
	s_movk_i32 s63, 0x7fff
	v_mov_b32_e32 v14, 0x7fc00000
	v_mov_b32_e32 v15, 0x7fc0
	;; [unrolled: 1-line block ×3, first 2 shown]
                                        ; implicit-def: $sgpr4_sgpr5
                                        ; implicit-def: $sgpr52_sgpr53
	s_branch .LBB19_3
.LBB19_2:                               ;   in Loop: Header=BB19_3 Depth=1
	s_or_b64 exec, exec, s[0:1]
	s_and_b64 s[0:1], exec, s[2:3]
	s_or_b64 s[48:49], s[0:1], s[48:49]
	s_andn2_b64 s[0:1], s[4:5], exec
	s_and_b64 s[2:3], s[52:53], exec
	s_or_b64 s[4:5], s[0:1], s[2:3]
	s_andn2_b64 exec, exec, s[48:49]
	s_cbranch_execz .LBB19_28
.LBB19_3:                               ; =>This Inner Loop Header: Depth=1
	v_ashrrev_i32_e32 v16, 31, v5
	v_or_b32_e32 v3, s41, v16
	v_cmp_ne_u64_e32 vcc, 0, v[2:3]
	v_mov_b32_e32 v17, v5
	v_ashrrev_i32_e32 v10, 31, v16
                                        ; implicit-def: $vgpr6_vgpr7
	s_and_saveexec_b64 s[0:1], vcc
	s_xor_b64 s[2:3], exec, s[0:1]
	s_cbranch_execz .LBB19_5
; %bb.4:                                ;   in Loop: Header=BB19_3 Depth=1
	s_ashr_i32 s54, s41, 31
	s_add_u32 s0, s40, s54
	s_mov_b32 s55, s54
	s_addc_u32 s1, s41, s54
	s_xor_b64 s[56:57], s[0:1], s[54:55]
	v_cvt_f32_u32_e32 v3, s56
	v_cvt_f32_u32_e32 v6, s57
	s_sub_u32 s55, 0, s56
	s_subb_u32 s58, 0, s57
	v_mac_f32_e32 v3, 0x4f800000, v6
	v_rcp_f32_e32 v3, v3
	v_mul_f32_e32 v3, 0x5f7ffffc, v3
	v_mul_f32_e32 v6, 0x2f800000, v3
	v_trunc_f32_e32 v6, v6
	v_mac_f32_e32 v3, 0xcf800000, v6
	v_cvt_u32_f32_e32 v6, v6
	v_cvt_u32_f32_e32 v3, v3
	v_readfirstlane_b32 s59, v6
	v_readfirstlane_b32 s0, v3
	s_mul_i32 s1, s55, s59
	s_mul_hi_u32 s65, s55, s0
	s_mul_i32 s64, s58, s0
	s_add_i32 s1, s65, s1
	s_add_i32 s1, s1, s64
	s_mul_i32 s66, s55, s0
	s_mul_i32 s65, s0, s1
	s_mul_hi_u32 s67, s0, s66
	s_mul_hi_u32 s64, s0, s1
	s_add_u32 s65, s67, s65
	s_addc_u32 s64, 0, s64
	s_mul_hi_u32 s68, s59, s66
	s_mul_i32 s66, s59, s66
	s_add_u32 s65, s65, s66
	s_mul_hi_u32 s67, s59, s1
	s_addc_u32 s64, s64, s68
	s_addc_u32 s65, s67, 0
	s_mul_i32 s1, s59, s1
	s_add_u32 s1, s64, s1
	s_addc_u32 s64, 0, s65
	s_add_u32 s65, s0, s1
	s_cselect_b64 s[0:1], -1, 0
	s_cmp_lg_u64 s[0:1], 0
	s_addc_u32 s59, s59, s64
	s_mul_i32 s0, s55, s59
	s_mul_hi_u32 s1, s55, s65
	s_add_i32 s0, s1, s0
	s_mul_i32 s58, s58, s65
	s_add_i32 s0, s0, s58
	s_mul_i32 s55, s55, s65
	s_mul_hi_u32 s58, s59, s55
	s_mul_i32 s64, s59, s55
	s_mul_i32 s67, s65, s0
	s_mul_hi_u32 s55, s65, s55
	s_mul_hi_u32 s66, s65, s0
	s_add_u32 s55, s55, s67
	s_addc_u32 s66, 0, s66
	s_add_u32 s55, s55, s64
	s_mul_hi_u32 s1, s59, s0
	s_addc_u32 s55, s66, s58
	s_addc_u32 s1, s1, 0
	s_mul_i32 s0, s59, s0
	s_add_u32 s0, s55, s0
	s_addc_u32 s55, 0, s1
	s_add_u32 s58, s65, s0
	s_cselect_b64 s[0:1], -1, 0
	s_cmp_lg_u64 s[0:1], 0
	v_add_co_u32_e32 v3, vcc, v17, v10
	s_addc_u32 s55, s59, s55
	v_xor_b32_e32 v3, v3, v10
	v_mad_u64_u32 v[6:7], s[0:1], v3, s55, 0
	v_mul_hi_u32 v9, v3, s58
	v_addc_co_u32_e32 v8, vcc, v16, v10, vcc
	v_xor_b32_e32 v11, v8, v10
	v_add_co_u32_e32 v12, vcc, v9, v6
	v_addc_co_u32_e32 v13, vcc, 0, v7, vcc
	v_mad_u64_u32 v[6:7], s[0:1], v11, s58, 0
	v_mad_u64_u32 v[8:9], s[0:1], v11, s55, 0
	v_add_co_u32_e32 v6, vcc, v12, v6
	v_addc_co_u32_e32 v6, vcc, v13, v7, vcc
	v_addc_co_u32_e32 v7, vcc, 0, v9, vcc
	v_add_co_u32_e32 v8, vcc, v6, v8
	v_addc_co_u32_e32 v9, vcc, 0, v7, vcc
	v_mul_lo_u32 v12, s57, v8
	v_mul_lo_u32 v13, s56, v9
	v_mad_u64_u32 v[6:7], s[0:1], s56, v8, 0
	v_add3_u32 v7, v7, v13, v12
	v_sub_u32_e32 v12, v11, v7
	v_mov_b32_e32 v13, s57
	v_sub_co_u32_e32 v3, vcc, v3, v6
	v_subb_co_u32_e64 v6, s[0:1], v12, v13, vcc
	v_subrev_co_u32_e64 v12, s[0:1], s56, v3
	v_subbrev_co_u32_e64 v6, s[0:1], 0, v6, s[0:1]
	v_cmp_le_u32_e64 s[0:1], s57, v6
	v_cndmask_b32_e64 v13, 0, -1, s[0:1]
	v_cmp_le_u32_e64 s[0:1], s56, v12
	v_cndmask_b32_e64 v12, 0, -1, s[0:1]
	v_cmp_eq_u32_e64 s[0:1], s57, v6
	v_cndmask_b32_e64 v6, v13, v12, s[0:1]
	v_add_co_u32_e64 v12, s[0:1], 2, v8
	v_subb_co_u32_e32 v7, vcc, v11, v7, vcc
	v_addc_co_u32_e64 v13, s[0:1], 0, v9, s[0:1]
	v_cmp_le_u32_e32 vcc, s57, v7
	v_add_co_u32_e64 v18, s[0:1], 1, v8
	v_cndmask_b32_e64 v11, 0, -1, vcc
	v_cmp_le_u32_e32 vcc, s56, v3
	v_addc_co_u32_e64 v19, s[0:1], 0, v9, s[0:1]
	v_cndmask_b32_e64 v3, 0, -1, vcc
	v_cmp_eq_u32_e32 vcc, s57, v7
	v_cmp_ne_u32_e64 s[0:1], 0, v6
	v_cndmask_b32_e32 v3, v11, v3, vcc
	v_cndmask_b32_e64 v6, v19, v13, s[0:1]
	v_cmp_ne_u32_e32 vcc, 0, v3
	v_cndmask_b32_e32 v3, v9, v6, vcc
	v_cndmask_b32_e64 v6, v18, v12, s[0:1]
	v_cndmask_b32_e32 v6, v8, v6, vcc
	v_xor_b32_e32 v7, s54, v10
	v_xor_b32_e32 v6, v6, v7
	;; [unrolled: 1-line block ×3, first 2 shown]
	v_sub_co_u32_e32 v6, vcc, v6, v7
	v_subb_co_u32_e32 v7, vcc, v3, v7, vcc
.LBB19_5:                               ;   in Loop: Header=BB19_3 Depth=1
	s_andn2_saveexec_b64 s[0:1], s[2:3]
	s_cbranch_execz .LBB19_7
; %bb.6:                                ;   in Loop: Header=BB19_3 Depth=1
	v_cvt_f32_u32_e32 v3, s40
	s_sub_i32 s2, 0, s40
	v_rcp_iflag_f32_e32 v3, v3
	v_mul_f32_e32 v3, 0x4f7ffffe, v3
	v_cvt_u32_f32_e32 v3, v3
	v_mul_lo_u32 v6, s2, v3
	v_mul_hi_u32 v6, v3, v6
	v_add_u32_e32 v3, v3, v6
	v_mul_hi_u32 v3, v17, v3
	v_mul_lo_u32 v6, v3, s40
	v_add_u32_e32 v7, 1, v3
	v_sub_u32_e32 v6, v17, v6
	v_subrev_u32_e32 v8, s40, v6
	v_cmp_le_u32_e32 vcc, s40, v6
	v_cndmask_b32_e32 v6, v6, v8, vcc
	v_cndmask_b32_e32 v3, v3, v7, vcc
	v_add_u32_e32 v7, 1, v3
	v_cmp_le_u32_e32 vcc, s40, v6
	v_cndmask_b32_e32 v6, v3, v7, vcc
	v_mov_b32_e32 v7, v2
.LBB19_7:                               ;   in Loop: Header=BB19_3 Depth=1
	s_or_b64 exec, exec, s[0:1]
	v_or_b32_e32 v3, s43, v7
	v_cmp_ne_u64_e32 vcc, 0, v[2:3]
                                        ; implicit-def: $vgpr8_vgpr9
	s_and_saveexec_b64 s[0:1], vcc
	s_xor_b64 s[54:55], exec, s[0:1]
	s_cbranch_execz .LBB19_9
; %bb.8:                                ;   in Loop: Header=BB19_3 Depth=1
	s_ashr_i32 s0, s43, 31
	s_add_u32 s2, s42, s0
	s_mov_b32 s1, s0
	s_addc_u32 s3, s43, s0
	s_xor_b64 s[56:57], s[2:3], s[0:1]
	v_cvt_f32_u32_e32 v3, s56
	v_cvt_f32_u32_e32 v8, s57
	s_sub_u32 s2, 0, s56
	s_subb_u32 s3, 0, s57
	v_mac_f32_e32 v3, 0x4f800000, v8
	v_rcp_f32_e32 v3, v3
	v_mul_f32_e32 v3, 0x5f7ffffc, v3
	v_mul_f32_e32 v8, 0x2f800000, v3
	v_trunc_f32_e32 v8, v8
	v_mac_f32_e32 v3, 0xcf800000, v8
	v_cvt_u32_f32_e32 v8, v8
	v_cvt_u32_f32_e32 v3, v3
	v_readfirstlane_b32 s58, v8
	v_readfirstlane_b32 s0, v3
	s_mul_i32 s1, s2, s58
	s_mul_hi_u32 s64, s2, s0
	s_mul_i32 s59, s3, s0
	s_add_i32 s1, s64, s1
	s_add_i32 s1, s1, s59
	s_mul_i32 s65, s2, s0
	s_mul_i32 s64, s0, s1
	s_mul_hi_u32 s66, s0, s65
	s_mul_hi_u32 s59, s0, s1
	s_add_u32 s64, s66, s64
	s_addc_u32 s59, 0, s59
	s_mul_hi_u32 s67, s58, s65
	s_mul_i32 s65, s58, s65
	s_add_u32 s64, s64, s65
	s_mul_hi_u32 s66, s58, s1
	s_addc_u32 s59, s59, s67
	s_addc_u32 s64, s66, 0
	s_mul_i32 s1, s58, s1
	s_add_u32 s1, s59, s1
	s_addc_u32 s59, 0, s64
	s_add_u32 s64, s0, s1
	s_cselect_b64 s[0:1], -1, 0
	s_cmp_lg_u64 s[0:1], 0
	s_addc_u32 s58, s58, s59
	s_mul_i32 s0, s2, s58
	s_mul_hi_u32 s1, s2, s64
	s_add_i32 s0, s1, s0
	s_mul_i32 s3, s3, s64
	s_add_i32 s0, s0, s3
	s_mul_i32 s2, s2, s64
	s_mul_hi_u32 s3, s58, s2
	s_mul_i32 s59, s58, s2
	s_mul_i32 s66, s64, s0
	s_mul_hi_u32 s2, s64, s2
	s_mul_hi_u32 s65, s64, s0
	s_add_u32 s2, s2, s66
	s_addc_u32 s65, 0, s65
	s_add_u32 s2, s2, s59
	s_mul_hi_u32 s1, s58, s0
	s_addc_u32 s2, s65, s3
	s_addc_u32 s1, s1, 0
	s_mul_i32 s0, s58, s0
	s_add_u32 s0, s2, s0
	s_addc_u32 s2, 0, s1
	s_add_u32 s3, s64, s0
	s_cselect_b64 s[0:1], -1, 0
	v_ashrrev_i32_e32 v3, 31, v7
	s_cmp_lg_u64 s[0:1], 0
	v_add_co_u32_e32 v8, vcc, v6, v3
	s_addc_u32 s2, s58, s2
	v_xor_b32_e32 v13, v8, v3
	v_mad_u64_u32 v[8:9], s[0:1], v13, s2, 0
	v_mul_hi_u32 v12, v13, s3
	v_addc_co_u32_e32 v11, vcc, v7, v3, vcc
	v_xor_b32_e32 v18, v11, v3
	v_add_co_u32_e32 v19, vcc, v12, v8
	v_addc_co_u32_e32 v20, vcc, 0, v9, vcc
	v_mad_u64_u32 v[8:9], s[0:1], v18, s3, 0
	v_mad_u64_u32 v[11:12], s[0:1], v18, s2, 0
	v_add_co_u32_e32 v8, vcc, v19, v8
	v_addc_co_u32_e32 v8, vcc, v20, v9, vcc
	v_addc_co_u32_e32 v9, vcc, 0, v12, vcc
	v_add_co_u32_e32 v8, vcc, v8, v11
	v_addc_co_u32_e32 v9, vcc, 0, v9, vcc
	v_mul_lo_u32 v11, s57, v8
	v_mul_lo_u32 v12, s56, v9
	v_mad_u64_u32 v[8:9], s[0:1], s56, v8, 0
	v_add3_u32 v9, v9, v12, v11
	v_sub_u32_e32 v11, v18, v9
	v_mov_b32_e32 v12, s57
	v_sub_co_u32_e32 v8, vcc, v13, v8
	v_subb_co_u32_e64 v11, s[0:1], v11, v12, vcc
	v_subrev_co_u32_e64 v13, s[0:1], s56, v8
	v_subbrev_co_u32_e64 v19, s[2:3], 0, v11, s[0:1]
	v_cmp_le_u32_e64 s[2:3], s57, v19
	v_cndmask_b32_e64 v20, 0, -1, s[2:3]
	v_cmp_le_u32_e64 s[2:3], s56, v13
	v_subb_co_u32_e64 v11, s[0:1], v11, v12, s[0:1]
	v_cndmask_b32_e64 v21, 0, -1, s[2:3]
	v_cmp_eq_u32_e64 s[2:3], s57, v19
	v_subrev_co_u32_e64 v12, s[0:1], s56, v13
	v_subb_co_u32_e32 v9, vcc, v18, v9, vcc
	v_cndmask_b32_e64 v20, v20, v21, s[2:3]
	v_subbrev_co_u32_e64 v11, s[0:1], 0, v11, s[0:1]
	v_cmp_le_u32_e32 vcc, s57, v9
	v_cmp_ne_u32_e64 s[0:1], 0, v20
	v_cndmask_b32_e64 v18, 0, -1, vcc
	v_cmp_le_u32_e32 vcc, s56, v8
	v_cndmask_b32_e64 v11, v19, v11, s[0:1]
	v_cndmask_b32_e64 v19, 0, -1, vcc
	v_cmp_eq_u32_e32 vcc, s57, v9
	v_cndmask_b32_e32 v18, v18, v19, vcc
	v_cmp_ne_u32_e32 vcc, 0, v18
	v_cndmask_b32_e32 v9, v9, v11, vcc
	v_cndmask_b32_e64 v11, v13, v12, s[0:1]
	v_cndmask_b32_e32 v8, v8, v11, vcc
	v_xor_b32_e32 v8, v8, v3
	v_xor_b32_e32 v9, v9, v3
	v_sub_co_u32_e32 v8, vcc, v8, v3
	v_subb_co_u32_e32 v9, vcc, v9, v3, vcc
.LBB19_9:                               ;   in Loop: Header=BB19_3 Depth=1
	s_andn2_saveexec_b64 s[0:1], s[54:55]
	s_cbranch_execz .LBB19_11
; %bb.10:                               ;   in Loop: Header=BB19_3 Depth=1
	v_cvt_f32_u32_e32 v3, s42
	s_sub_i32 s2, 0, s42
	v_mov_b32_e32 v9, v2
	v_rcp_iflag_f32_e32 v3, v3
	v_mul_f32_e32 v3, 0x4f7ffffe, v3
	v_cvt_u32_f32_e32 v3, v3
	v_mul_lo_u32 v8, s2, v3
	v_mul_hi_u32 v8, v3, v8
	v_add_u32_e32 v3, v3, v8
	v_mul_hi_u32 v3, v6, v3
	v_mul_lo_u32 v3, v3, s42
	v_sub_u32_e32 v3, v6, v3
	v_subrev_u32_e32 v8, s42, v3
	v_cmp_le_u32_e32 vcc, s42, v3
	v_cndmask_b32_e32 v3, v3, v8, vcc
	v_subrev_u32_e32 v8, s42, v3
	v_cmp_le_u32_e32 vcc, s42, v3
	v_cndmask_b32_e32 v8, v3, v8, vcc
.LBB19_11:                              ;   in Loop: Header=BB19_3 Depth=1
	s_or_b64 exec, exec, s[0:1]
	v_or_b32_e32 v3, s33, v16
	v_cmp_ne_u64_e32 vcc, 0, v[2:3]
                                        ; implicit-def: $vgpr12_vgpr13
	s_and_saveexec_b64 s[0:1], vcc
	s_xor_b64 s[2:3], exec, s[0:1]
	s_cbranch_execz .LBB19_13
; %bb.12:                               ;   in Loop: Header=BB19_3 Depth=1
	s_ashr_i32 s54, s33, 31
	s_add_u32 s0, s60, s54
	s_mov_b32 s55, s54
	s_addc_u32 s1, s33, s54
	s_xor_b64 s[56:57], s[0:1], s[54:55]
	v_cvt_f32_u32_e32 v3, s56
	v_cvt_f32_u32_e32 v11, s57
	s_sub_u32 s55, 0, s56
	s_subb_u32 s58, 0, s57
	v_mac_f32_e32 v3, 0x4f800000, v11
	v_rcp_f32_e32 v3, v3
	v_mul_f32_e32 v3, 0x5f7ffffc, v3
	v_mul_f32_e32 v11, 0x2f800000, v3
	v_trunc_f32_e32 v11, v11
	v_mac_f32_e32 v3, 0xcf800000, v11
	v_cvt_u32_f32_e32 v11, v11
	v_cvt_u32_f32_e32 v3, v3
	v_readfirstlane_b32 s59, v11
	v_readfirstlane_b32 s0, v3
	s_mul_i32 s1, s55, s59
	s_mul_hi_u32 s65, s55, s0
	s_mul_i32 s64, s58, s0
	s_add_i32 s1, s65, s1
	s_add_i32 s1, s1, s64
	s_mul_i32 s66, s55, s0
	s_mul_i32 s65, s0, s1
	s_mul_hi_u32 s67, s0, s66
	s_mul_hi_u32 s64, s0, s1
	s_add_u32 s65, s67, s65
	s_addc_u32 s64, 0, s64
	s_mul_hi_u32 s68, s59, s66
	s_mul_i32 s66, s59, s66
	s_add_u32 s65, s65, s66
	s_mul_hi_u32 s67, s59, s1
	s_addc_u32 s64, s64, s68
	s_addc_u32 s65, s67, 0
	s_mul_i32 s1, s59, s1
	s_add_u32 s1, s64, s1
	s_addc_u32 s64, 0, s65
	s_add_u32 s65, s0, s1
	s_cselect_b64 s[0:1], -1, 0
	s_cmp_lg_u64 s[0:1], 0
	s_addc_u32 s59, s59, s64
	s_mul_i32 s0, s55, s59
	s_mul_hi_u32 s1, s55, s65
	s_add_i32 s0, s1, s0
	s_mul_i32 s58, s58, s65
	s_add_i32 s0, s0, s58
	s_mul_i32 s55, s55, s65
	s_mul_hi_u32 s58, s59, s55
	s_mul_i32 s64, s59, s55
	s_mul_i32 s67, s65, s0
	s_mul_hi_u32 s55, s65, s55
	s_mul_hi_u32 s66, s65, s0
	s_add_u32 s55, s55, s67
	s_addc_u32 s66, 0, s66
	s_add_u32 s55, s55, s64
	s_mul_hi_u32 s1, s59, s0
	s_addc_u32 s55, s66, s58
	s_addc_u32 s1, s1, 0
	s_mul_i32 s0, s59, s0
	s_add_u32 s0, s55, s0
	s_addc_u32 s55, 0, s1
	s_add_u32 s58, s65, s0
	s_cselect_b64 s[0:1], -1, 0
	s_cmp_lg_u64 s[0:1], 0
	v_add_co_u32_e32 v3, vcc, v17, v10
	s_addc_u32 s55, s59, s55
	v_xor_b32_e32 v3, v3, v10
	v_mad_u64_u32 v[11:12], s[0:1], v3, s55, 0
	v_mul_hi_u32 v18, v3, s58
	v_addc_co_u32_e32 v13, vcc, v16, v10, vcc
	v_xor_b32_e32 v13, v13, v10
	v_add_co_u32_e32 v20, vcc, v18, v11
	v_addc_co_u32_e32 v21, vcc, 0, v12, vcc
	v_mad_u64_u32 v[11:12], s[0:1], v13, s58, 0
	v_mad_u64_u32 v[18:19], s[0:1], v13, s55, 0
	v_add_co_u32_e32 v11, vcc, v20, v11
	v_addc_co_u32_e32 v11, vcc, v21, v12, vcc
	v_addc_co_u32_e32 v12, vcc, 0, v19, vcc
	v_add_co_u32_e32 v18, vcc, v11, v18
	v_addc_co_u32_e32 v19, vcc, 0, v12, vcc
	v_mul_lo_u32 v20, s57, v18
	v_mul_lo_u32 v21, s56, v19
	v_mad_u64_u32 v[11:12], s[0:1], s56, v18, 0
	v_xor_b32_e32 v10, s54, v10
	v_add3_u32 v12, v12, v21, v20
	v_sub_u32_e32 v20, v13, v12
	v_mov_b32_e32 v21, s57
	v_sub_co_u32_e32 v3, vcc, v3, v11
	v_subb_co_u32_e64 v11, s[0:1], v20, v21, vcc
	v_subrev_co_u32_e64 v20, s[0:1], s56, v3
	v_subbrev_co_u32_e64 v11, s[0:1], 0, v11, s[0:1]
	v_cmp_le_u32_e64 s[0:1], s57, v11
	v_cndmask_b32_e64 v21, 0, -1, s[0:1]
	v_cmp_le_u32_e64 s[0:1], s56, v20
	v_cndmask_b32_e64 v20, 0, -1, s[0:1]
	v_cmp_eq_u32_e64 s[0:1], s57, v11
	v_cndmask_b32_e64 v11, v21, v20, s[0:1]
	v_add_co_u32_e64 v20, s[0:1], 2, v18
	v_subb_co_u32_e32 v12, vcc, v13, v12, vcc
	v_addc_co_u32_e64 v21, s[0:1], 0, v19, s[0:1]
	v_cmp_le_u32_e32 vcc, s57, v12
	v_add_co_u32_e64 v22, s[0:1], 1, v18
	v_cndmask_b32_e64 v13, 0, -1, vcc
	v_cmp_le_u32_e32 vcc, s56, v3
	v_addc_co_u32_e64 v23, s[0:1], 0, v19, s[0:1]
	v_cndmask_b32_e64 v3, 0, -1, vcc
	v_cmp_eq_u32_e32 vcc, s57, v12
	v_cmp_ne_u32_e64 s[0:1], 0, v11
	v_cndmask_b32_e32 v3, v13, v3, vcc
	v_cndmask_b32_e64 v11, v23, v21, s[0:1]
	v_cmp_ne_u32_e32 vcc, 0, v3
	v_cndmask_b32_e32 v3, v19, v11, vcc
	v_cndmask_b32_e64 v11, v22, v20, s[0:1]
	v_cndmask_b32_e32 v11, v18, v11, vcc
	v_xor_b32_e32 v11, v11, v10
	v_xor_b32_e32 v3, v3, v10
	v_sub_co_u32_e32 v12, vcc, v11, v10
	v_subb_co_u32_e32 v13, vcc, v3, v10, vcc
.LBB19_13:                              ;   in Loop: Header=BB19_3 Depth=1
	s_andn2_saveexec_b64 s[0:1], s[2:3]
	s_cbranch_execz .LBB19_15
; %bb.14:                               ;   in Loop: Header=BB19_3 Depth=1
	v_cvt_f32_u32_e32 v3, s60
	s_sub_i32 s2, 0, s60
	v_mov_b32_e32 v13, v2
	v_rcp_iflag_f32_e32 v3, v3
	v_mul_f32_e32 v3, 0x4f7ffffe, v3
	v_cvt_u32_f32_e32 v3, v3
	v_mul_lo_u32 v10, s2, v3
	v_mul_hi_u32 v10, v3, v10
	v_add_u32_e32 v3, v3, v10
	v_mul_hi_u32 v3, v5, v3
	v_mul_lo_u32 v10, v3, s60
	v_add_u32_e32 v11, 1, v3
	v_sub_u32_e32 v10, v5, v10
	v_subrev_u32_e32 v12, s60, v10
	v_cmp_le_u32_e32 vcc, s60, v10
	v_cndmask_b32_e32 v10, v10, v12, vcc
	v_cndmask_b32_e32 v3, v3, v11, vcc
	v_add_u32_e32 v11, 1, v3
	v_cmp_le_u32_e32 vcc, s60, v10
	v_cndmask_b32_e32 v12, v3, v11, vcc
.LBB19_15:                              ;   in Loop: Header=BB19_3 Depth=1
	s_or_b64 exec, exec, s[0:1]
	v_or_b32_e32 v3, s45, v13
	v_cmp_ne_u64_e32 vcc, 0, v[2:3]
                                        ; implicit-def: $vgpr10_vgpr11
	s_and_saveexec_b64 s[0:1], vcc
	s_xor_b64 s[54:55], exec, s[0:1]
	s_cbranch_execz .LBB19_17
; %bb.16:                               ;   in Loop: Header=BB19_3 Depth=1
	s_ashr_i32 s0, s45, 31
	s_add_u32 s2, s44, s0
	s_mov_b32 s1, s0
	s_addc_u32 s3, s45, s0
	s_xor_b64 s[56:57], s[2:3], s[0:1]
	v_cvt_f32_u32_e32 v3, s56
	v_cvt_f32_u32_e32 v10, s57
	s_sub_u32 s2, 0, s56
	s_subb_u32 s3, 0, s57
	v_mac_f32_e32 v3, 0x4f800000, v10
	v_rcp_f32_e32 v3, v3
	v_mul_f32_e32 v3, 0x5f7ffffc, v3
	v_mul_f32_e32 v10, 0x2f800000, v3
	v_trunc_f32_e32 v10, v10
	v_mac_f32_e32 v3, 0xcf800000, v10
	v_cvt_u32_f32_e32 v10, v10
	v_cvt_u32_f32_e32 v3, v3
	v_readfirstlane_b32 s58, v10
	v_readfirstlane_b32 s0, v3
	s_mul_i32 s1, s2, s58
	s_mul_hi_u32 s64, s2, s0
	s_mul_i32 s59, s3, s0
	s_add_i32 s1, s64, s1
	s_add_i32 s1, s1, s59
	s_mul_i32 s65, s2, s0
	s_mul_i32 s64, s0, s1
	s_mul_hi_u32 s66, s0, s65
	s_mul_hi_u32 s59, s0, s1
	s_add_u32 s64, s66, s64
	s_addc_u32 s59, 0, s59
	s_mul_hi_u32 s67, s58, s65
	s_mul_i32 s65, s58, s65
	s_add_u32 s64, s64, s65
	s_mul_hi_u32 s66, s58, s1
	s_addc_u32 s59, s59, s67
	s_addc_u32 s64, s66, 0
	s_mul_i32 s1, s58, s1
	s_add_u32 s1, s59, s1
	s_addc_u32 s59, 0, s64
	s_add_u32 s64, s0, s1
	s_cselect_b64 s[0:1], -1, 0
	s_cmp_lg_u64 s[0:1], 0
	s_addc_u32 s58, s58, s59
	s_mul_i32 s0, s2, s58
	s_mul_hi_u32 s1, s2, s64
	s_add_i32 s0, s1, s0
	s_mul_i32 s3, s3, s64
	s_add_i32 s0, s0, s3
	s_mul_i32 s2, s2, s64
	s_mul_hi_u32 s3, s58, s2
	s_mul_i32 s59, s58, s2
	s_mul_i32 s66, s64, s0
	s_mul_hi_u32 s2, s64, s2
	s_mul_hi_u32 s65, s64, s0
	s_add_u32 s2, s2, s66
	s_addc_u32 s65, 0, s65
	s_add_u32 s2, s2, s59
	s_mul_hi_u32 s1, s58, s0
	s_addc_u32 s2, s65, s3
	s_addc_u32 s1, s1, 0
	s_mul_i32 s0, s58, s0
	s_add_u32 s0, s2, s0
	s_addc_u32 s2, 0, s1
	s_add_u32 s3, s64, s0
	s_cselect_b64 s[0:1], -1, 0
	v_ashrrev_i32_e32 v3, 31, v13
	s_cmp_lg_u64 s[0:1], 0
	v_add_co_u32_e32 v10, vcc, v12, v3
	s_addc_u32 s2, s58, s2
	v_xor_b32_e32 v18, v10, v3
	v_addc_co_u32_e32 v12, vcc, v13, v3, vcc
	v_mad_u64_u32 v[10:11], s[0:1], v18, s2, 0
	v_mul_hi_u32 v13, v18, s3
	v_xor_b32_e32 v19, v12, v3
	v_add_co_u32_e32 v20, vcc, v13, v10
	v_addc_co_u32_e32 v21, vcc, 0, v11, vcc
	v_mad_u64_u32 v[10:11], s[0:1], v19, s3, 0
	v_mad_u64_u32 v[12:13], s[0:1], v19, s2, 0
	v_add_co_u32_e32 v10, vcc, v20, v10
	v_addc_co_u32_e32 v10, vcc, v21, v11, vcc
	v_addc_co_u32_e32 v11, vcc, 0, v13, vcc
	v_add_co_u32_e32 v10, vcc, v10, v12
	v_addc_co_u32_e32 v11, vcc, 0, v11, vcc
	v_mul_lo_u32 v12, s57, v10
	v_mul_lo_u32 v13, s56, v11
	v_mad_u64_u32 v[10:11], s[0:1], s56, v10, 0
	v_add3_u32 v11, v11, v13, v12
	v_sub_u32_e32 v12, v19, v11
	v_mov_b32_e32 v13, s57
	v_sub_co_u32_e32 v10, vcc, v18, v10
	v_subb_co_u32_e64 v12, s[0:1], v12, v13, vcc
	v_subrev_co_u32_e64 v18, s[0:1], s56, v10
	v_subbrev_co_u32_e64 v20, s[2:3], 0, v12, s[0:1]
	v_cmp_le_u32_e64 s[2:3], s57, v20
	v_cndmask_b32_e64 v21, 0, -1, s[2:3]
	v_cmp_le_u32_e64 s[2:3], s56, v18
	v_subb_co_u32_e64 v12, s[0:1], v12, v13, s[0:1]
	v_cndmask_b32_e64 v22, 0, -1, s[2:3]
	v_cmp_eq_u32_e64 s[2:3], s57, v20
	v_subrev_co_u32_e64 v13, s[0:1], s56, v18
	v_subb_co_u32_e32 v11, vcc, v19, v11, vcc
	v_cndmask_b32_e64 v21, v21, v22, s[2:3]
	v_subbrev_co_u32_e64 v12, s[0:1], 0, v12, s[0:1]
	v_cmp_le_u32_e32 vcc, s57, v11
	v_cmp_ne_u32_e64 s[0:1], 0, v21
	v_cndmask_b32_e64 v19, 0, -1, vcc
	v_cmp_le_u32_e32 vcc, s56, v10
	v_cndmask_b32_e64 v12, v20, v12, s[0:1]
	v_cndmask_b32_e64 v20, 0, -1, vcc
	v_cmp_eq_u32_e32 vcc, s57, v11
	v_cndmask_b32_e32 v19, v19, v20, vcc
	v_cmp_ne_u32_e32 vcc, 0, v19
	v_cndmask_b32_e32 v11, v11, v12, vcc
	v_cndmask_b32_e64 v12, v18, v13, s[0:1]
	v_cndmask_b32_e32 v10, v10, v12, vcc
	v_xor_b32_e32 v10, v10, v3
	v_xor_b32_e32 v11, v11, v3
	v_sub_co_u32_e32 v10, vcc, v10, v3
	v_subb_co_u32_e32 v11, vcc, v11, v3, vcc
                                        ; implicit-def: $vgpr12_vgpr13
.LBB19_17:                              ;   in Loop: Header=BB19_3 Depth=1
	s_andn2_saveexec_b64 s[0:1], s[54:55]
	s_cbranch_execz .LBB19_19
; %bb.18:                               ;   in Loop: Header=BB19_3 Depth=1
	v_cvt_f32_u32_e32 v3, s44
	s_sub_i32 s2, 0, s44
	v_mov_b32_e32 v11, v2
	v_rcp_iflag_f32_e32 v3, v3
	v_mul_f32_e32 v3, 0x4f7ffffe, v3
	v_cvt_u32_f32_e32 v3, v3
	v_mul_lo_u32 v10, s2, v3
	v_mul_hi_u32 v10, v3, v10
	v_add_u32_e32 v3, v3, v10
	v_mul_hi_u32 v3, v12, v3
	v_mul_lo_u32 v3, v3, s44
	v_sub_u32_e32 v3, v12, v3
	v_subrev_u32_e32 v10, s44, v3
	v_cmp_le_u32_e32 vcc, s44, v3
	v_cndmask_b32_e32 v3, v3, v10, vcc
	v_subrev_u32_e32 v10, s44, v3
	v_cmp_le_u32_e32 vcc, s44, v3
	v_cndmask_b32_e32 v10, v3, v10, vcc
.LBB19_19:                              ;   in Loop: Header=BB19_3 Depth=1
	s_or_b64 exec, exec, s[0:1]
	v_mul_lo_u32 v3, v7, s40
	v_mul_lo_u32 v12, v6, s41
	v_mad_u64_u32 v[6:7], s[0:1], v6, s40, 0
	v_mul_lo_u32 v18, s11, v8
	v_mul_lo_u32 v19, s10, v9
	v_add3_u32 v7, v7, v12, v3
	v_sub_co_u32_e32 v3, vcc, v17, v6
	v_subb_co_u32_e32 v12, vcc, v16, v7, vcc
	v_mul_lo_u32 v13, s9, v3
	v_mul_lo_u32 v16, s8, v12
	v_mad_u64_u32 v[6:7], s[0:1], s8, v3, 0
	s_mov_b64 s[2:3], -1
	s_mov_b64 s[56:57], -1
	v_add3_u32 v7, v7, v16, v13
	v_mad_u64_u32 v[16:17], s[0:1], s10, v8, 0
	v_lshlrev_b64 v[6:7], 3, v[6:7]
	v_mov_b32_e32 v13, s7
	v_add_co_u32_e32 v20, vcc, s6, v6
	v_add3_u32 v17, v17, v19, v18
	v_addc_co_u32_e32 v13, vcc, v13, v7, vcc
	v_lshlrev_b64 v[6:7], 3, v[16:17]
	v_mul_lo_u32 v18, s13, v10
	v_mul_lo_u32 v19, s12, v11
	v_mad_u64_u32 v[16:17], s[0:1], s12, v10, 0
	v_add_co_u32_e32 v20, vcc, v20, v6
	v_add3_u32 v17, v17, v19, v18
	v_addc_co_u32_e32 v13, vcc, v13, v7, vcc
	v_lshlrev_b64 v[6:7], 3, v[16:17]
	v_add_co_u32_e32 v6, vcc, v20, v6
	v_addc_co_u32_e32 v7, vcc, v13, v7, vcc
	global_load_dwordx2 v[6:7], v[6:7], off
	s_waitcnt vmcnt(0)
	v_cmp_ne_u64_e32 vcc, s[38:39], v[6:7]
	s_and_saveexec_b64 s[54:55], vcc
	s_cbranch_execz .LBB19_26
; %bb.20:                               ;   in Loop: Header=BB19_3 Depth=1
	v_cmp_lt_i64_e32 vcc, -1, v[6:7]
	v_cmp_gt_i64_e64 s[0:1], s[46:47], v[6:7]
	s_mov_b64 s[58:59], 0
	s_and_b64 s[0:1], vcc, s[0:1]
	s_and_saveexec_b64 s[56:57], s[0:1]
	s_cbranch_execz .LBB19_25
; %bb.21:                               ;   in Loop: Header=BB19_3 Depth=1
	s_andn2_b64 vcc, exec, s[50:51]
	s_cbranch_vccnz .LBB19_23
; %bb.22:                               ;   in Loop: Header=BB19_3 Depth=1
	v_lshlrev_b64 v[16:17], 1, v[6:7]
	v_mov_b32_e32 v13, s37
	v_add_co_u32_e32 v16, vcc, s36, v16
	v_addc_co_u32_e32 v17, vcc, v13, v17, vcc
	global_load_ushort v13, v[16:17], off
	s_waitcnt vmcnt(0)
	v_lshlrev_b32_e32 v13, 16, v13
	s_branch .LBB19_24
.LBB19_23:                              ;   in Loop: Header=BB19_3 Depth=1
	v_mov_b32_e32 v13, 1.0
.LBB19_24:                              ;   in Loop: Header=BB19_3 Depth=1
	s_waitcnt lgkmcnt(0)
	v_mul_lo_u32 v18, s17, v3
	v_mul_lo_u32 v19, s16, v12
	v_mad_u64_u32 v[16:17], s[0:1], s16, v3, 0
	v_mul_lo_u32 v20, s19, v8
	v_mul_lo_u32 v21, s18, v9
	v_add3_u32 v17, v17, v19, v18
	v_lshlrev_b64 v[16:17], 1, v[16:17]
	v_mov_b32_e32 v18, s15
	v_add_co_u32_e32 v19, vcc, s14, v16
	v_addc_co_u32_e32 v18, vcc, v18, v17, vcc
	v_mad_u64_u32 v[16:17], s[0:1], s18, v8, 0
	v_mul_lo_u32 v12, s24, v12
	s_mov_b64 s[58:59], exec
	v_add3_u32 v17, v17, v21, v20
	v_lshlrev_b64 v[16:17], 1, v[16:17]
	v_mul_lo_u32 v20, s21, v10
	v_add_co_u32_e32 v19, vcc, v19, v16
	v_addc_co_u32_e32 v18, vcc, v18, v17, vcc
	v_mul_lo_u32 v21, s20, v11
	v_mad_u64_u32 v[16:17], s[0:1], s20, v10, 0
	v_add3_u32 v17, v17, v21, v20
	v_lshlrev_b64 v[16:17], 1, v[16:17]
	v_mul_lo_u32 v20, s25, v3
	v_add_co_u32_e32 v16, vcc, v19, v16
	v_addc_co_u32_e32 v17, vcc, v18, v17, vcc
	global_load_ushort v16, v[16:17], off
	v_mad_u64_u32 v[18:19], s[0:1], s24, v3, 0
	v_mul_lo_u32 v3, s27, v6
	v_xor_b32_e32 v17, 0x80000000, v13
	v_add3_u32 v19, v19, v12, v20
	v_mul_lo_u32 v12, s26, v7
	v_mad_u64_u32 v[6:7], s[0:1], s26, v6, 0
	v_lshlrev_b64 v[18:19], 1, v[18:19]
	v_add3_u32 v7, v7, v12, v3
	v_mul_lo_u32 v3, s29, v8
	v_mul_lo_u32 v12, s28, v9
	v_mad_u64_u32 v[8:9], s[0:1], s28, v8, 0
	v_lshlrev_b64 v[6:7], 1, v[6:7]
	v_add3_u32 v9, v9, v12, v3
	v_mul_lo_u32 v3, s31, v10
	v_mul_lo_u32 v12, s30, v11
	v_mad_u64_u32 v[10:11], s[0:1], s30, v10, 0
	v_lshlrev_b64 v[8:9], 1, v[8:9]
	v_add3_u32 v11, v11, v12, v3
	v_mov_b32_e32 v3, s23
	v_add_co_u32_e32 v12, vcc, s22, v18
	v_addc_co_u32_e32 v3, vcc, v3, v19, vcc
	v_cmp_o_f32_e32 vcc, v13, v13
	v_bfe_u32 v13, v17, 16, 1
	v_add3_u32 v13, v17, v13, s63
	v_and_b32_e32 v13, 0xffff0000, v13
	v_cndmask_b32_e32 v13, v14, v13, vcc
	v_add_co_u32_e32 v6, vcc, v12, v6
	v_addc_co_u32_e32 v3, vcc, v3, v7, vcc
	v_lshlrev_b64 v[10:11], 1, v[10:11]
	v_add_co_u32_e32 v6, vcc, v6, v8
	v_addc_co_u32_e32 v3, vcc, v3, v9, vcc
	v_add_co_u32_e32 v6, vcc, v6, v10
	s_waitcnt vmcnt(0)
	v_lshlrev_b32_e32 v7, 16, v16
	v_mul_f32_e32 v7, v13, v7
	v_bfe_u32 v8, v7, 16, 1
	v_cmp_o_f32_e64 s[0:1], v7, v7
	v_add3_u32 v7, v7, v8, s63
	v_lshrrev_b32_e32 v7, 16, v7
	v_cndmask_b32_e64 v8, v15, v7, s[0:1]
	v_addc_co_u32_e32 v7, vcc, v3, v11, vcc
	global_store_short v[6:7], v8, off
.LBB19_25:                              ;   in Loop: Header=BB19_3 Depth=1
	s_or_b64 exec, exec, s[56:57]
	s_orn2_b64 s[56:57], s[58:59], exec
.LBB19_26:                              ;   in Loop: Header=BB19_3 Depth=1
	s_or_b64 exec, exec, s[54:55]
	s_or_b64 s[52:53], s[52:53], exec
	s_and_saveexec_b64 s[0:1], s[56:57]
	s_cbranch_execz .LBB19_2
; %bb.27:                               ;   in Loop: Header=BB19_3 Depth=1
	v_add_co_u32_e32 v0, vcc, s61, v0
	v_addc_co_u32_e32 v1, vcc, 0, v1, vcc
	v_mov_b32_e32 v3, s62
	v_add_co_u32_e32 v4, vcc, 0, v4
	v_addc_co_u32_e32 v5, vcc, v5, v3, vcc
	v_cmp_le_i64_e32 vcc, s[34:35], v[0:1]
	s_andn2_b64 s[52:53], s[52:53], exec
	s_orn2_b64 s[2:3], vcc, exec
	s_branch .LBB19_2
.LBB19_28:
	s_or_b64 exec, exec, s[48:49]
	s_and_saveexec_b64 s[0:1], s[4:5]
	s_xor_b64 s[0:1], exec, s[0:1]
	s_cbranch_execnz .LBB19_30
.LBB19_29:
	s_endpgm
.LBB19_30:
	s_trap 2
	; divergent unreachable
	s_endpgm
	.section	.rodata,"a",@progbits
	.p2align	6, 0x0
	.amdhsa_kernel _ZN2at6native12_GLOBAL__N_136nll_loss2d_backward_no_reduce_kernelIN3c108BFloat16EEEvlN5torch10headeronly6detail27GenericPackedTensorAccessorINS7_14TensorAccessorINS3_8ArrayRefIlEElLm2ENS6_16DefaultPtrTraitsElEENS_6detail16IndexBoundsCheckILm3ElEElLm3ESC_lEENS8_INS9_ISB_T_Lm2ESC_lEESG_SI_Lm3ESC_lEENS8_INS9_ISB_SI_Lm3ESC_lEENSF_ILm4ElEESI_Lm4ESC_lEEPKSI_l
		.amdhsa_group_segment_fixed_size 0
		.amdhsa_private_segment_fixed_size 0
		.amdhsa_kernarg_size 464
		.amdhsa_user_sgpr_count 6
		.amdhsa_user_sgpr_private_segment_buffer 1
		.amdhsa_user_sgpr_dispatch_ptr 0
		.amdhsa_user_sgpr_queue_ptr 0
		.amdhsa_user_sgpr_kernarg_segment_ptr 1
		.amdhsa_user_sgpr_dispatch_id 0
		.amdhsa_user_sgpr_flat_scratch_init 0
		.amdhsa_user_sgpr_private_segment_size 0
		.amdhsa_uses_dynamic_stack 0
		.amdhsa_system_sgpr_private_segment_wavefront_offset 0
		.amdhsa_system_sgpr_workgroup_id_x 1
		.amdhsa_system_sgpr_workgroup_id_y 0
		.amdhsa_system_sgpr_workgroup_id_z 0
		.amdhsa_system_sgpr_workgroup_info 0
		.amdhsa_system_vgpr_workitem_id 0
		.amdhsa_next_free_vgpr 24
		.amdhsa_next_free_sgpr 69
		.amdhsa_reserve_vcc 1
		.amdhsa_reserve_flat_scratch 0
		.amdhsa_float_round_mode_32 0
		.amdhsa_float_round_mode_16_64 0
		.amdhsa_float_denorm_mode_32 3
		.amdhsa_float_denorm_mode_16_64 3
		.amdhsa_dx10_clamp 1
		.amdhsa_ieee_mode 1
		.amdhsa_fp16_overflow 0
		.amdhsa_exception_fp_ieee_invalid_op 0
		.amdhsa_exception_fp_denorm_src 0
		.amdhsa_exception_fp_ieee_div_zero 0
		.amdhsa_exception_fp_ieee_overflow 0
		.amdhsa_exception_fp_ieee_underflow 0
		.amdhsa_exception_fp_ieee_inexact 0
		.amdhsa_exception_int_div_zero 0
	.end_amdhsa_kernel
	.section	.text._ZN2at6native12_GLOBAL__N_136nll_loss2d_backward_no_reduce_kernelIN3c108BFloat16EEEvlN5torch10headeronly6detail27GenericPackedTensorAccessorINS7_14TensorAccessorINS3_8ArrayRefIlEElLm2ENS6_16DefaultPtrTraitsElEENS_6detail16IndexBoundsCheckILm3ElEElLm3ESC_lEENS8_INS9_ISB_T_Lm2ESC_lEESG_SI_Lm3ESC_lEENS8_INS9_ISB_SI_Lm3ESC_lEENSF_ILm4ElEESI_Lm4ESC_lEEPKSI_l,"axG",@progbits,_ZN2at6native12_GLOBAL__N_136nll_loss2d_backward_no_reduce_kernelIN3c108BFloat16EEEvlN5torch10headeronly6detail27GenericPackedTensorAccessorINS7_14TensorAccessorINS3_8ArrayRefIlEElLm2ENS6_16DefaultPtrTraitsElEENS_6detail16IndexBoundsCheckILm3ElEElLm3ESC_lEENS8_INS9_ISB_T_Lm2ESC_lEESG_SI_Lm3ESC_lEENS8_INS9_ISB_SI_Lm3ESC_lEENSF_ILm4ElEESI_Lm4ESC_lEEPKSI_l,comdat
.Lfunc_end19:
	.size	_ZN2at6native12_GLOBAL__N_136nll_loss2d_backward_no_reduce_kernelIN3c108BFloat16EEEvlN5torch10headeronly6detail27GenericPackedTensorAccessorINS7_14TensorAccessorINS3_8ArrayRefIlEElLm2ENS6_16DefaultPtrTraitsElEENS_6detail16IndexBoundsCheckILm3ElEElLm3ESC_lEENS8_INS9_ISB_T_Lm2ESC_lEESG_SI_Lm3ESC_lEENS8_INS9_ISB_SI_Lm3ESC_lEENSF_ILm4ElEESI_Lm4ESC_lEEPKSI_l, .Lfunc_end19-_ZN2at6native12_GLOBAL__N_136nll_loss2d_backward_no_reduce_kernelIN3c108BFloat16EEEvlN5torch10headeronly6detail27GenericPackedTensorAccessorINS7_14TensorAccessorINS3_8ArrayRefIlEElLm2ENS6_16DefaultPtrTraitsElEENS_6detail16IndexBoundsCheckILm3ElEElLm3ESC_lEENS8_INS9_ISB_T_Lm2ESC_lEESG_SI_Lm3ESC_lEENS8_INS9_ISB_SI_Lm3ESC_lEENSF_ILm4ElEESI_Lm4ESC_lEEPKSI_l
                                        ; -- End function
	.set _ZN2at6native12_GLOBAL__N_136nll_loss2d_backward_no_reduce_kernelIN3c108BFloat16EEEvlN5torch10headeronly6detail27GenericPackedTensorAccessorINS7_14TensorAccessorINS3_8ArrayRefIlEElLm2ENS6_16DefaultPtrTraitsElEENS_6detail16IndexBoundsCheckILm3ElEElLm3ESC_lEENS8_INS9_ISB_T_Lm2ESC_lEESG_SI_Lm3ESC_lEENS8_INS9_ISB_SI_Lm3ESC_lEENSF_ILm4ElEESI_Lm4ESC_lEEPKSI_l.num_vgpr, 24
	.set _ZN2at6native12_GLOBAL__N_136nll_loss2d_backward_no_reduce_kernelIN3c108BFloat16EEEvlN5torch10headeronly6detail27GenericPackedTensorAccessorINS7_14TensorAccessorINS3_8ArrayRefIlEElLm2ENS6_16DefaultPtrTraitsElEENS_6detail16IndexBoundsCheckILm3ElEElLm3ESC_lEENS8_INS9_ISB_T_Lm2ESC_lEESG_SI_Lm3ESC_lEENS8_INS9_ISB_SI_Lm3ESC_lEENSF_ILm4ElEESI_Lm4ESC_lEEPKSI_l.num_agpr, 0
	.set _ZN2at6native12_GLOBAL__N_136nll_loss2d_backward_no_reduce_kernelIN3c108BFloat16EEEvlN5torch10headeronly6detail27GenericPackedTensorAccessorINS7_14TensorAccessorINS3_8ArrayRefIlEElLm2ENS6_16DefaultPtrTraitsElEENS_6detail16IndexBoundsCheckILm3ElEElLm3ESC_lEENS8_INS9_ISB_T_Lm2ESC_lEESG_SI_Lm3ESC_lEENS8_INS9_ISB_SI_Lm3ESC_lEENSF_ILm4ElEESI_Lm4ESC_lEEPKSI_l.numbered_sgpr, 69
	.set _ZN2at6native12_GLOBAL__N_136nll_loss2d_backward_no_reduce_kernelIN3c108BFloat16EEEvlN5torch10headeronly6detail27GenericPackedTensorAccessorINS7_14TensorAccessorINS3_8ArrayRefIlEElLm2ENS6_16DefaultPtrTraitsElEENS_6detail16IndexBoundsCheckILm3ElEElLm3ESC_lEENS8_INS9_ISB_T_Lm2ESC_lEESG_SI_Lm3ESC_lEENS8_INS9_ISB_SI_Lm3ESC_lEENSF_ILm4ElEESI_Lm4ESC_lEEPKSI_l.num_named_barrier, 0
	.set _ZN2at6native12_GLOBAL__N_136nll_loss2d_backward_no_reduce_kernelIN3c108BFloat16EEEvlN5torch10headeronly6detail27GenericPackedTensorAccessorINS7_14TensorAccessorINS3_8ArrayRefIlEElLm2ENS6_16DefaultPtrTraitsElEENS_6detail16IndexBoundsCheckILm3ElEElLm3ESC_lEENS8_INS9_ISB_T_Lm2ESC_lEESG_SI_Lm3ESC_lEENS8_INS9_ISB_SI_Lm3ESC_lEENSF_ILm4ElEESI_Lm4ESC_lEEPKSI_l.private_seg_size, 0
	.set _ZN2at6native12_GLOBAL__N_136nll_loss2d_backward_no_reduce_kernelIN3c108BFloat16EEEvlN5torch10headeronly6detail27GenericPackedTensorAccessorINS7_14TensorAccessorINS3_8ArrayRefIlEElLm2ENS6_16DefaultPtrTraitsElEENS_6detail16IndexBoundsCheckILm3ElEElLm3ESC_lEENS8_INS9_ISB_T_Lm2ESC_lEESG_SI_Lm3ESC_lEENS8_INS9_ISB_SI_Lm3ESC_lEENSF_ILm4ElEESI_Lm4ESC_lEEPKSI_l.uses_vcc, 1
	.set _ZN2at6native12_GLOBAL__N_136nll_loss2d_backward_no_reduce_kernelIN3c108BFloat16EEEvlN5torch10headeronly6detail27GenericPackedTensorAccessorINS7_14TensorAccessorINS3_8ArrayRefIlEElLm2ENS6_16DefaultPtrTraitsElEENS_6detail16IndexBoundsCheckILm3ElEElLm3ESC_lEENS8_INS9_ISB_T_Lm2ESC_lEESG_SI_Lm3ESC_lEENS8_INS9_ISB_SI_Lm3ESC_lEENSF_ILm4ElEESI_Lm4ESC_lEEPKSI_l.uses_flat_scratch, 0
	.set _ZN2at6native12_GLOBAL__N_136nll_loss2d_backward_no_reduce_kernelIN3c108BFloat16EEEvlN5torch10headeronly6detail27GenericPackedTensorAccessorINS7_14TensorAccessorINS3_8ArrayRefIlEElLm2ENS6_16DefaultPtrTraitsElEENS_6detail16IndexBoundsCheckILm3ElEElLm3ESC_lEENS8_INS9_ISB_T_Lm2ESC_lEESG_SI_Lm3ESC_lEENS8_INS9_ISB_SI_Lm3ESC_lEENSF_ILm4ElEESI_Lm4ESC_lEEPKSI_l.has_dyn_sized_stack, 0
	.set _ZN2at6native12_GLOBAL__N_136nll_loss2d_backward_no_reduce_kernelIN3c108BFloat16EEEvlN5torch10headeronly6detail27GenericPackedTensorAccessorINS7_14TensorAccessorINS3_8ArrayRefIlEElLm2ENS6_16DefaultPtrTraitsElEENS_6detail16IndexBoundsCheckILm3ElEElLm3ESC_lEENS8_INS9_ISB_T_Lm2ESC_lEESG_SI_Lm3ESC_lEENS8_INS9_ISB_SI_Lm3ESC_lEENSF_ILm4ElEESI_Lm4ESC_lEEPKSI_l.has_recursion, 0
	.set _ZN2at6native12_GLOBAL__N_136nll_loss2d_backward_no_reduce_kernelIN3c108BFloat16EEEvlN5torch10headeronly6detail27GenericPackedTensorAccessorINS7_14TensorAccessorINS3_8ArrayRefIlEElLm2ENS6_16DefaultPtrTraitsElEENS_6detail16IndexBoundsCheckILm3ElEElLm3ESC_lEENS8_INS9_ISB_T_Lm2ESC_lEESG_SI_Lm3ESC_lEENS8_INS9_ISB_SI_Lm3ESC_lEENSF_ILm4ElEESI_Lm4ESC_lEEPKSI_l.has_indirect_call, 0
	.section	.AMDGPU.csdata,"",@progbits
; Kernel info:
; codeLenInByte = 4012
; TotalNumSgprs: 73
; NumVgprs: 24
; ScratchSize: 0
; MemoryBound: 0
; FloatMode: 240
; IeeeMode: 1
; LDSByteSize: 0 bytes/workgroup (compile time only)
; SGPRBlocks: 9
; VGPRBlocks: 5
; NumSGPRsForWavesPerEU: 73
; NumVGPRsForWavesPerEU: 24
; Occupancy: 10
; WaveLimiterHint : 1
; COMPUTE_PGM_RSRC2:SCRATCH_EN: 0
; COMPUTE_PGM_RSRC2:USER_SGPR: 6
; COMPUTE_PGM_RSRC2:TRAP_HANDLER: 0
; COMPUTE_PGM_RSRC2:TGID_X_EN: 1
; COMPUTE_PGM_RSRC2:TGID_Y_EN: 0
; COMPUTE_PGM_RSRC2:TGID_Z_EN: 0
; COMPUTE_PGM_RSRC2:TIDIG_COMP_CNT: 0
	.section	.text._ZN2at6native12_GLOBAL__N_126nll_loss2d_backward_kernelIdEEvPT_PKS3_PKlS6_S6_biiil,"axG",@progbits,_ZN2at6native12_GLOBAL__N_126nll_loss2d_backward_kernelIdEEvPT_PKS3_PKlS6_S6_biiil,comdat
	.globl	_ZN2at6native12_GLOBAL__N_126nll_loss2d_backward_kernelIdEEvPT_PKS3_PKlS6_S6_biiil ; -- Begin function _ZN2at6native12_GLOBAL__N_126nll_loss2d_backward_kernelIdEEvPT_PKS3_PKlS6_S6_biiil
	.p2align	8
	.type	_ZN2at6native12_GLOBAL__N_126nll_loss2d_backward_kernelIdEEvPT_PKS3_PKlS6_S6_biiil,@function
_ZN2at6native12_GLOBAL__N_126nll_loss2d_backward_kernelIdEEvPT_PKS3_PKlS6_S6_biiil: ; @_ZN2at6native12_GLOBAL__N_126nll_loss2d_backward_kernelIdEEvPT_PKS3_PKlS6_S6_biiil
; %bb.0:
	s_load_dwordx8 s[8:15], s[4:5], 0x0
	s_load_dwordx4 s[16:19], s[4:5], 0x28
	s_waitcnt lgkmcnt(0)
	s_load_dwordx2 s[0:1], s[10:11], 0x0
	s_load_dwordx2 s[2:3], s[4:5], 0x20
	s_bitcmp0_b32 s16, 0
	s_waitcnt lgkmcnt(0)
	v_mov_b32_e32 v2, s1
	v_mov_b32_e32 v1, s0
	s_cbranch_scc1 .LBB20_2
; %bb.1:
	s_load_dwordx2 s[2:3], s[2:3], 0x0
	v_mov_b32_e32 v2, s1
	v_mov_b32_e32 v1, s0
	s_waitcnt lgkmcnt(0)
	v_div_scale_f64 v[3:4], s[10:11], s[2:3], s[2:3], v[1:2]
	v_rcp_f64_e32 v[5:6], v[3:4]
	v_fma_f64 v[7:8], -v[3:4], v[5:6], 1.0
	v_fma_f64 v[5:6], v[5:6], v[7:8], v[5:6]
	v_mov_b32_e32 v8, s3
	v_mov_b32_e32 v7, s2
	v_div_scale_f64 v[7:8], vcc, s[0:1], v[7:8], s[0:1]
	v_fma_f64 v[9:10], -v[3:4], v[5:6], 1.0
	v_fma_f64 v[5:6], v[5:6], v[9:10], v[5:6]
	v_mul_f64 v[9:10], v[7:8], v[5:6]
	v_fma_f64 v[3:4], -v[3:4], v[9:10], v[7:8]
	v_div_fmas_f64 v[3:4], v[3:4], v[5:6], v[9:10]
	v_div_fixup_f64 v[1:2], v[3:4], s[2:3], v[1:2]
.LBB20_2:
	v_cvt_f32_u32_e32 v3, s19
	s_sub_i32 s0, 0, s19
	s_load_dword s1, s[4:5], 0x4c
	v_rcp_iflag_f32_e32 v3, v3
	v_mul_f32_e32 v3, 0x4f7ffffe, v3
	v_cvt_u32_f32_e32 v3, v3
	v_readfirstlane_b32 s2, v3
	s_mul_i32 s0, s0, s2
	s_mul_hi_u32 s0, s2, s0
	s_add_i32 s2, s2, s0
	s_mul_hi_u32 s0, s6, s2
	s_mul_i32 s2, s0, s19
	s_sub_i32 s2, s6, s2
	s_add_i32 s3, s0, 1
	s_sub_i32 s7, s2, s19
	s_cmp_ge_u32 s2, s19
	s_cselect_b32 s0, s3, s0
	s_cselect_b32 s2, s7, s2
	s_add_i32 s3, s0, 1
	s_cmp_ge_u32 s2, s19
	s_cselect_b32 s0, s3, s0
	s_mul_i32 s2, s0, s19
	s_waitcnt lgkmcnt(0)
	s_and_b32 s1, s1, 0xffff
	s_sub_i32 s2, s6, s2
	s_mul_i32 s2, s2, s1
	v_add_u32_e32 v3, s2, v0
	v_cmp_gt_i32_e32 vcc, s18, v3
	s_and_saveexec_b64 s[2:3], vcc
	s_cbranch_execz .LBB20_19
; %bb.3:
	s_mul_i32 s0, s0, s18
	s_mul_i32 s2, s0, s17
	s_ashr_i32 s3, s2, 31
	s_mul_i32 s6, s19, s1
	s_ashr_i32 s1, s0, 31
	s_lshl_b64 s[2:3], s[2:3], 3
	s_add_u32 s19, s8, s2
	s_addc_u32 s33, s9, s3
	s_ashr_i32 s9, s17, 31
	s_ashr_i32 s36, s18, 31
	s_cmp_lg_u64 s[14:15], 0
	s_cselect_b64 s[2:3], -1, 0
	s_lshl_b64 s[0:1], s[0:1], 3
	v_ashrrev_i32_e32 v4, 31, v3
	s_load_dwordx2 s[4:5], s[4:5], 0x38
	v_lshlrev_b64 v[7:8], 3, v[3:4]
	s_add_u32 s0, s12, s0
	s_addc_u32 s1, s13, s1
	v_mov_b32_e32 v0, s1
	v_add_co_u32_e32 v7, vcc, s0, v7
	v_addc_co_u32_e32 v8, vcc, v0, v8, vcc
	s_ashr_i32 s7, s6, 31
	v_cndmask_b32_e64 v0, 0, 1, s[2:3]
	v_xor_b32_e32 v6, 0x80000000, v2
	v_mov_b32_e32 v5, v1
	s_mov_b32 s8, s17
	s_mov_b64 s[10:11], 0
	s_lshl_b64 s[16:17], s[6:7], 3
	v_cmp_ne_u32_e64 s[0:1], 1, v0
                                        ; implicit-def: $sgpr20_sgpr21
                                        ; implicit-def: $sgpr12_sgpr13
                                        ; implicit-def: $sgpr22_sgpr23
                                        ; implicit-def: $sgpr24_sgpr25
	s_branch .LBB20_5
.LBB20_4:                               ;   in Loop: Header=BB20_5 Depth=1
	s_or_b64 exec, exec, s[2:3]
	s_and_b64 s[2:3], exec, s[26:27]
	s_or_b64 s[10:11], s[2:3], s[10:11]
	s_andn2_b64 s[2:3], s[12:13], exec
	s_and_b64 s[12:13], s[24:25], exec
	s_or_b64 s[12:13], s[2:3], s[12:13]
	s_andn2_b64 s[2:3], s[20:21], exec
	s_and_b64 s[20:21], s[22:23], exec
	s_or_b64 s[20:21], s[2:3], s[20:21]
	s_andn2_b64 exec, exec, s[10:11]
	s_cbranch_execz .LBB20_15
.LBB20_5:                               ; =>This Inner Loop Header: Depth=1
	global_load_dwordx2 v[9:10], v[7:8], off
	s_mov_b64 s[34:35], -1
                                        ; implicit-def: $sgpr28_sgpr29
                                        ; implicit-def: $sgpr30_sgpr31
	s_waitcnt vmcnt(0) lgkmcnt(0)
	v_cmp_ne_u64_e32 vcc, s[4:5], v[9:10]
	s_and_saveexec_b64 s[26:27], vcc
	s_cbranch_execz .LBB20_13
; %bb.6:                                ;   in Loop: Header=BB20_5 Depth=1
	v_cmp_lt_i64_e32 vcc, -1, v[9:10]
	v_cmp_gt_i64_e64 s[2:3], s[8:9], v[9:10]
	s_mov_b64 s[28:29], -1
	s_and_b64 s[38:39], vcc, s[2:3]
	s_mov_b64 s[34:35], 0
	s_mov_b64 s[30:31], 0
	s_and_saveexec_b64 s[2:3], s[38:39]
	s_cbranch_execz .LBB20_12
; %bb.7:                                ;   in Loop: Header=BB20_5 Depth=1
	v_mad_u64_u32 v[11:12], s[28:29], v9, s18, v[3:4]
	v_mul_lo_u32 v0, v9, s36
	v_mul_lo_u32 v13, v10, s18
	v_add3_u32 v12, v13, v12, v0
	v_cmp_lt_i64_e32 vcc, -1, v[11:12]
	s_and_saveexec_b64 s[28:29], vcc
	s_cbranch_execz .LBB20_11
; %bb.8:                                ;   in Loop: Header=BB20_5 Depth=1
	v_mov_b32_e32 v14, v6
	s_and_b64 vcc, exec, s[0:1]
	v_mov_b32_e32 v13, v5
	s_cbranch_vccnz .LBB20_10
; %bb.9:                                ;   in Loop: Header=BB20_5 Depth=1
	v_lshlrev_b64 v[9:10], 3, v[9:10]
	v_mov_b32_e32 v0, s15
	v_add_co_u32_e32 v9, vcc, s14, v9
	v_addc_co_u32_e32 v10, vcc, v0, v10, vcc
	global_load_dwordx2 v[9:10], v[9:10], off
	s_waitcnt vmcnt(0)
	v_mul_f64 v[13:14], v[9:10], -v[1:2]
.LBB20_10:                              ;   in Loop: Header=BB20_5 Depth=1
	v_lshlrev_b64 v[9:10], 3, v[11:12]
	v_mov_b32_e32 v0, s33
	v_add_co_u32_e32 v9, vcc, s19, v9
	s_mov_b64 s[34:35], exec
	v_addc_co_u32_e32 v10, vcc, v0, v10, vcc
	global_store_dwordx2 v[9:10], v[13:14], off
.LBB20_11:                              ;   in Loop: Header=BB20_5 Depth=1
	s_or_b64 exec, exec, s[28:29]
	s_mov_b64 s[30:31], exec
	s_xor_b64 s[28:29], exec, -1
	s_and_b64 s[34:35], s[34:35], exec
.LBB20_12:                              ;   in Loop: Header=BB20_5 Depth=1
	s_or_b64 exec, exec, s[2:3]
	s_orn2_b64 s[34:35], s[34:35], exec
.LBB20_13:                              ;   in Loop: Header=BB20_5 Depth=1
	s_or_b64 exec, exec, s[26:27]
	s_andn2_b64 s[2:3], s[24:25], exec
	s_and_b64 s[24:25], s[30:31], exec
	s_or_b64 s[24:25], s[2:3], s[24:25]
	s_andn2_b64 s[2:3], s[22:23], exec
	s_and_b64 s[22:23], s[28:29], exec
	s_mov_b64 s[26:27], -1
	s_or_b64 s[22:23], s[2:3], s[22:23]
	s_and_saveexec_b64 s[2:3], s[34:35]
	s_cbranch_execz .LBB20_4
; %bb.14:                               ;   in Loop: Header=BB20_5 Depth=1
	v_mov_b32_e32 v0, s7
	v_add_co_u32_e32 v3, vcc, s6, v3
	v_addc_co_u32_e32 v4, vcc, v4, v0, vcc
	v_mov_b32_e32 v0, s17
	v_add_co_u32_e32 v7, vcc, s16, v7
	v_addc_co_u32_e32 v8, vcc, v8, v0, vcc
	v_cmp_le_i32_e32 vcc, s18, v3
	s_andn2_b64 s[24:25], s[24:25], exec
	s_andn2_b64 s[22:23], s[22:23], exec
	s_orn2_b64 s[26:27], vcc, exec
	s_branch .LBB20_4
.LBB20_15:
	s_or_b64 exec, exec, s[10:11]
	s_xor_b64 s[2:3], s[20:21], -1
	s_mov_b64 s[0:1], 0
	s_and_saveexec_b64 s[4:5], s[2:3]
	s_xor_b64 s[2:3], exec, s[4:5]
	s_cbranch_execnz .LBB20_20
; %bb.16:
	s_andn2_saveexec_b64 s[2:3], s[2:3]
	s_cbranch_execnz .LBB20_22
.LBB20_17:
	s_or_b64 exec, exec, s[2:3]
	s_and_b64 exec, exec, s[0:1]
.LBB20_18:
	; divergent unreachable
.LBB20_19:
	s_endpgm
.LBB20_20:
	s_and_saveexec_b64 s[4:5], s[12:13]
	s_xor_b64 s[4:5], exec, s[4:5]
	s_cbranch_execnz .LBB20_23
.LBB20_21:
	s_or_b64 exec, exec, s[4:5]
	s_and_b64 s[0:1], s[0:1], exec
	s_andn2_saveexec_b64 s[2:3], s[2:3]
	s_cbranch_execz .LBB20_17
.LBB20_22:
	s_or_b64 s[0:1], s[0:1], exec
	s_trap 2
	s_or_b64 exec, exec, s[2:3]
	s_and_b64 exec, exec, s[0:1]
	s_cbranch_execnz .LBB20_18
	s_branch .LBB20_19
.LBB20_23:
	s_mov_b64 s[0:1], exec
	s_trap 2
	s_branch .LBB20_21
	.section	.rodata,"a",@progbits
	.p2align	6, 0x0
	.amdhsa_kernel _ZN2at6native12_GLOBAL__N_126nll_loss2d_backward_kernelIdEEvPT_PKS3_PKlS6_S6_biiil
		.amdhsa_group_segment_fixed_size 0
		.amdhsa_private_segment_fixed_size 0
		.amdhsa_kernarg_size 320
		.amdhsa_user_sgpr_count 6
		.amdhsa_user_sgpr_private_segment_buffer 1
		.amdhsa_user_sgpr_dispatch_ptr 0
		.amdhsa_user_sgpr_queue_ptr 0
		.amdhsa_user_sgpr_kernarg_segment_ptr 1
		.amdhsa_user_sgpr_dispatch_id 0
		.amdhsa_user_sgpr_flat_scratch_init 0
		.amdhsa_user_sgpr_private_segment_size 0
		.amdhsa_uses_dynamic_stack 0
		.amdhsa_system_sgpr_private_segment_wavefront_offset 0
		.amdhsa_system_sgpr_workgroup_id_x 1
		.amdhsa_system_sgpr_workgroup_id_y 0
		.amdhsa_system_sgpr_workgroup_id_z 0
		.amdhsa_system_sgpr_workgroup_info 0
		.amdhsa_system_vgpr_workitem_id 0
		.amdhsa_next_free_vgpr 15
		.amdhsa_next_free_sgpr 40
		.amdhsa_reserve_vcc 1
		.amdhsa_reserve_flat_scratch 0
		.amdhsa_float_round_mode_32 0
		.amdhsa_float_round_mode_16_64 0
		.amdhsa_float_denorm_mode_32 3
		.amdhsa_float_denorm_mode_16_64 3
		.amdhsa_dx10_clamp 1
		.amdhsa_ieee_mode 1
		.amdhsa_fp16_overflow 0
		.amdhsa_exception_fp_ieee_invalid_op 0
		.amdhsa_exception_fp_denorm_src 0
		.amdhsa_exception_fp_ieee_div_zero 0
		.amdhsa_exception_fp_ieee_overflow 0
		.amdhsa_exception_fp_ieee_underflow 0
		.amdhsa_exception_fp_ieee_inexact 0
		.amdhsa_exception_int_div_zero 0
	.end_amdhsa_kernel
	.section	.text._ZN2at6native12_GLOBAL__N_126nll_loss2d_backward_kernelIdEEvPT_PKS3_PKlS6_S6_biiil,"axG",@progbits,_ZN2at6native12_GLOBAL__N_126nll_loss2d_backward_kernelIdEEvPT_PKS3_PKlS6_S6_biiil,comdat
.Lfunc_end20:
	.size	_ZN2at6native12_GLOBAL__N_126nll_loss2d_backward_kernelIdEEvPT_PKS3_PKlS6_S6_biiil, .Lfunc_end20-_ZN2at6native12_GLOBAL__N_126nll_loss2d_backward_kernelIdEEvPT_PKS3_PKlS6_S6_biiil
                                        ; -- End function
	.set _ZN2at6native12_GLOBAL__N_126nll_loss2d_backward_kernelIdEEvPT_PKS3_PKlS6_S6_biiil.num_vgpr, 15
	.set _ZN2at6native12_GLOBAL__N_126nll_loss2d_backward_kernelIdEEvPT_PKS3_PKlS6_S6_biiil.num_agpr, 0
	.set _ZN2at6native12_GLOBAL__N_126nll_loss2d_backward_kernelIdEEvPT_PKS3_PKlS6_S6_biiil.numbered_sgpr, 40
	.set _ZN2at6native12_GLOBAL__N_126nll_loss2d_backward_kernelIdEEvPT_PKS3_PKlS6_S6_biiil.num_named_barrier, 0
	.set _ZN2at6native12_GLOBAL__N_126nll_loss2d_backward_kernelIdEEvPT_PKS3_PKlS6_S6_biiil.private_seg_size, 0
	.set _ZN2at6native12_GLOBAL__N_126nll_loss2d_backward_kernelIdEEvPT_PKS3_PKlS6_S6_biiil.uses_vcc, 1
	.set _ZN2at6native12_GLOBAL__N_126nll_loss2d_backward_kernelIdEEvPT_PKS3_PKlS6_S6_biiil.uses_flat_scratch, 0
	.set _ZN2at6native12_GLOBAL__N_126nll_loss2d_backward_kernelIdEEvPT_PKS3_PKlS6_S6_biiil.has_dyn_sized_stack, 0
	.set _ZN2at6native12_GLOBAL__N_126nll_loss2d_backward_kernelIdEEvPT_PKS3_PKlS6_S6_biiil.has_recursion, 0
	.set _ZN2at6native12_GLOBAL__N_126nll_loss2d_backward_kernelIdEEvPT_PKS3_PKlS6_S6_biiil.has_indirect_call, 0
	.section	.AMDGPU.csdata,"",@progbits
; Kernel info:
; codeLenInByte = 896
; TotalNumSgprs: 44
; NumVgprs: 15
; ScratchSize: 0
; MemoryBound: 0
; FloatMode: 240
; IeeeMode: 1
; LDSByteSize: 0 bytes/workgroup (compile time only)
; SGPRBlocks: 5
; VGPRBlocks: 3
; NumSGPRsForWavesPerEU: 44
; NumVGPRsForWavesPerEU: 15
; Occupancy: 10
; WaveLimiterHint : 1
; COMPUTE_PGM_RSRC2:SCRATCH_EN: 0
; COMPUTE_PGM_RSRC2:USER_SGPR: 6
; COMPUTE_PGM_RSRC2:TRAP_HANDLER: 0
; COMPUTE_PGM_RSRC2:TGID_X_EN: 1
; COMPUTE_PGM_RSRC2:TGID_Y_EN: 0
; COMPUTE_PGM_RSRC2:TGID_Z_EN: 0
; COMPUTE_PGM_RSRC2:TIDIG_COMP_CNT: 0
	.section	.text._ZN2at6native12_GLOBAL__N_126nll_loss2d_backward_kernelIfEEvPT_PKS3_PKlS6_S6_biiil,"axG",@progbits,_ZN2at6native12_GLOBAL__N_126nll_loss2d_backward_kernelIfEEvPT_PKS3_PKlS6_S6_biiil,comdat
	.globl	_ZN2at6native12_GLOBAL__N_126nll_loss2d_backward_kernelIfEEvPT_PKS3_PKlS6_S6_biiil ; -- Begin function _ZN2at6native12_GLOBAL__N_126nll_loss2d_backward_kernelIfEEvPT_PKS3_PKlS6_S6_biiil
	.p2align	8
	.type	_ZN2at6native12_GLOBAL__N_126nll_loss2d_backward_kernelIfEEvPT_PKS3_PKlS6_S6_biiil,@function
_ZN2at6native12_GLOBAL__N_126nll_loss2d_backward_kernelIfEEvPT_PKS3_PKlS6_S6_biiil: ; @_ZN2at6native12_GLOBAL__N_126nll_loss2d_backward_kernelIfEEvPT_PKS3_PKlS6_S6_biiil
; %bb.0:
	s_load_dwordx8 s[8:15], s[4:5], 0x0
	s_load_dwordx4 s[16:19], s[4:5], 0x28
	s_waitcnt lgkmcnt(0)
	s_load_dword s2, s[10:11], 0x0
	s_load_dwordx2 s[0:1], s[4:5], 0x20
	s_bitcmp0_b32 s16, 0
	s_waitcnt lgkmcnt(0)
	v_mov_b32_e32 v8, s2
	s_cbranch_scc1 .LBB21_2
; %bb.1:
	s_load_dword s3, s[0:1], 0x0
	v_mov_b32_e32 v1, s2
	s_waitcnt lgkmcnt(0)
	v_div_scale_f32 v2, s[0:1], s3, s3, v1
	v_mov_b32_e32 v3, s3
	v_div_scale_f32 v3, vcc, s2, v3, s2
	v_rcp_f32_e32 v4, v2
	v_fma_f32 v5, -v2, v4, 1.0
	v_fmac_f32_e32 v4, v5, v4
	v_mul_f32_e32 v5, v3, v4
	v_fma_f32 v6, -v2, v5, v3
	v_fmac_f32_e32 v5, v6, v4
	v_fma_f32 v2, -v2, v5, v3
	v_div_fmas_f32 v2, v2, v4, v5
	v_div_fixup_f32 v8, v2, s3, v1
.LBB21_2:
	v_cvt_f32_u32_e32 v1, s19
	s_sub_i32 s0, 0, s19
	s_load_dword s1, s[4:5], 0x4c
	v_rcp_iflag_f32_e32 v1, v1
	v_mul_f32_e32 v1, 0x4f7ffffe, v1
	v_cvt_u32_f32_e32 v1, v1
	v_readfirstlane_b32 s2, v1
	s_mul_i32 s0, s0, s2
	s_mul_hi_u32 s0, s2, s0
	s_add_i32 s2, s2, s0
	s_mul_hi_u32 s0, s6, s2
	s_mul_i32 s2, s0, s19
	s_sub_i32 s2, s6, s2
	s_add_i32 s3, s0, 1
	s_sub_i32 s7, s2, s19
	s_cmp_ge_u32 s2, s19
	s_cselect_b32 s0, s3, s0
	s_cselect_b32 s2, s7, s2
	s_add_i32 s3, s0, 1
	s_cmp_ge_u32 s2, s19
	s_cselect_b32 s0, s3, s0
	s_mul_i32 s2, s0, s19
	s_waitcnt lgkmcnt(0)
	s_and_b32 s1, s1, 0xffff
	s_sub_i32 s2, s6, s2
	s_mul_i32 s2, s2, s1
	v_add_u32_e32 v0, s2, v0
	v_cmp_gt_i32_e32 vcc, s18, v0
	s_and_saveexec_b64 s[2:3], vcc
	s_cbranch_execz .LBB21_19
; %bb.3:
	s_mul_i32 s0, s0, s18
	s_mul_i32 s2, s0, s17
	s_ashr_i32 s3, s2, 31
	s_mul_i32 s6, s19, s1
	s_ashr_i32 s1, s0, 31
	s_lshl_b64 s[2:3], s[2:3], 2
	s_add_u32 s19, s8, s2
	s_addc_u32 s33, s9, s3
	s_ashr_i32 s9, s17, 31
	s_ashr_i32 s36, s18, 31
	s_cmp_lg_u64 s[14:15], 0
	s_cselect_b64 s[2:3], -1, 0
	s_lshl_b64 s[0:1], s[0:1], 3
	v_ashrrev_i32_e32 v1, 31, v0
	s_load_dwordx2 s[4:5], s[4:5], 0x38
	v_lshlrev_b64 v[2:3], 3, v[0:1]
	s_add_u32 s0, s12, s0
	s_addc_u32 s1, s13, s1
	v_mov_b32_e32 v4, s1
	v_add_co_u32_e32 v2, vcc, s0, v2
	v_addc_co_u32_e32 v3, vcc, v4, v3, vcc
	s_ashr_i32 s7, s6, 31
	v_cndmask_b32_e64 v4, 0, 1, s[2:3]
	v_xor_b32_e32 v9, 0x80000000, v8
	s_mov_b32 s8, s17
	s_mov_b64 s[10:11], 0
	s_lshl_b64 s[16:17], s[6:7], 3
	v_cmp_ne_u32_e64 s[0:1], 1, v4
                                        ; implicit-def: $sgpr20_sgpr21
                                        ; implicit-def: $sgpr12_sgpr13
                                        ; implicit-def: $sgpr22_sgpr23
                                        ; implicit-def: $sgpr24_sgpr25
	s_branch .LBB21_5
.LBB21_4:                               ;   in Loop: Header=BB21_5 Depth=1
	s_or_b64 exec, exec, s[2:3]
	s_and_b64 s[2:3], exec, s[26:27]
	s_or_b64 s[10:11], s[2:3], s[10:11]
	s_andn2_b64 s[2:3], s[12:13], exec
	s_and_b64 s[12:13], s[24:25], exec
	s_or_b64 s[12:13], s[2:3], s[12:13]
	s_andn2_b64 s[2:3], s[20:21], exec
	s_and_b64 s[20:21], s[22:23], exec
	s_or_b64 s[20:21], s[2:3], s[20:21]
	s_andn2_b64 exec, exec, s[10:11]
	s_cbranch_execz .LBB21_15
.LBB21_5:                               ; =>This Inner Loop Header: Depth=1
	global_load_dwordx2 v[4:5], v[2:3], off
	s_mov_b64 s[34:35], -1
                                        ; implicit-def: $sgpr28_sgpr29
                                        ; implicit-def: $sgpr30_sgpr31
	s_waitcnt vmcnt(0) lgkmcnt(0)
	v_cmp_ne_u64_e32 vcc, s[4:5], v[4:5]
	s_and_saveexec_b64 s[26:27], vcc
	s_cbranch_execz .LBB21_13
; %bb.6:                                ;   in Loop: Header=BB21_5 Depth=1
	v_cmp_lt_i64_e32 vcc, -1, v[4:5]
	v_cmp_gt_i64_e64 s[2:3], s[8:9], v[4:5]
	s_mov_b64 s[28:29], -1
	s_and_b64 s[38:39], vcc, s[2:3]
	s_mov_b64 s[34:35], 0
	s_mov_b64 s[30:31], 0
	s_and_saveexec_b64 s[2:3], s[38:39]
	s_cbranch_execz .LBB21_12
; %bb.7:                                ;   in Loop: Header=BB21_5 Depth=1
	v_mad_u64_u32 v[6:7], s[28:29], v4, s18, v[0:1]
	v_mul_lo_u32 v10, v4, s36
	v_mul_lo_u32 v11, v5, s18
	v_add3_u32 v7, v11, v7, v10
	v_cmp_lt_i64_e32 vcc, -1, v[6:7]
	s_and_saveexec_b64 s[28:29], vcc
	s_cbranch_execz .LBB21_11
; %bb.8:                                ;   in Loop: Header=BB21_5 Depth=1
	s_and_b64 vcc, exec, s[0:1]
	v_mov_b32_e32 v10, v9
	s_cbranch_vccnz .LBB21_10
; %bb.9:                                ;   in Loop: Header=BB21_5 Depth=1
	v_lshlrev_b64 v[4:5], 2, v[4:5]
	v_mov_b32_e32 v10, s15
	v_add_co_u32_e32 v4, vcc, s14, v4
	v_addc_co_u32_e32 v5, vcc, v10, v5, vcc
	global_load_dword v4, v[4:5], off
	s_waitcnt vmcnt(0)
	v_mul_f32_e64 v10, v4, -v8
.LBB21_10:                              ;   in Loop: Header=BB21_5 Depth=1
	v_lshlrev_b64 v[4:5], 2, v[6:7]
	v_mov_b32_e32 v6, s33
	v_add_co_u32_e32 v4, vcc, s19, v4
	s_mov_b64 s[34:35], exec
	v_addc_co_u32_e32 v5, vcc, v6, v5, vcc
	global_store_dword v[4:5], v10, off
.LBB21_11:                              ;   in Loop: Header=BB21_5 Depth=1
	s_or_b64 exec, exec, s[28:29]
	s_mov_b64 s[30:31], exec
	s_xor_b64 s[28:29], exec, -1
	s_and_b64 s[34:35], s[34:35], exec
.LBB21_12:                              ;   in Loop: Header=BB21_5 Depth=1
	s_or_b64 exec, exec, s[2:3]
	s_orn2_b64 s[34:35], s[34:35], exec
.LBB21_13:                              ;   in Loop: Header=BB21_5 Depth=1
	s_or_b64 exec, exec, s[26:27]
	s_andn2_b64 s[2:3], s[24:25], exec
	s_and_b64 s[24:25], s[30:31], exec
	s_or_b64 s[24:25], s[2:3], s[24:25]
	s_andn2_b64 s[2:3], s[22:23], exec
	s_and_b64 s[22:23], s[28:29], exec
	s_mov_b64 s[26:27], -1
	s_or_b64 s[22:23], s[2:3], s[22:23]
	s_and_saveexec_b64 s[2:3], s[34:35]
	s_cbranch_execz .LBB21_4
; %bb.14:                               ;   in Loop: Header=BB21_5 Depth=1
	v_mov_b32_e32 v4, s7
	v_add_co_u32_e32 v0, vcc, s6, v0
	v_addc_co_u32_e32 v1, vcc, v1, v4, vcc
	v_mov_b32_e32 v4, s17
	v_add_co_u32_e32 v2, vcc, s16, v2
	v_addc_co_u32_e32 v3, vcc, v3, v4, vcc
	v_cmp_le_i32_e32 vcc, s18, v0
	s_andn2_b64 s[24:25], s[24:25], exec
	s_andn2_b64 s[22:23], s[22:23], exec
	s_orn2_b64 s[26:27], vcc, exec
	s_branch .LBB21_4
.LBB21_15:
	s_or_b64 exec, exec, s[10:11]
	s_xor_b64 s[2:3], s[20:21], -1
	s_mov_b64 s[0:1], 0
	s_and_saveexec_b64 s[4:5], s[2:3]
	s_xor_b64 s[2:3], exec, s[4:5]
	s_cbranch_execnz .LBB21_20
; %bb.16:
	s_andn2_saveexec_b64 s[2:3], s[2:3]
	s_cbranch_execnz .LBB21_22
.LBB21_17:
	s_or_b64 exec, exec, s[2:3]
	s_and_b64 exec, exec, s[0:1]
.LBB21_18:
	; divergent unreachable
.LBB21_19:
	s_endpgm
.LBB21_20:
	s_and_saveexec_b64 s[4:5], s[12:13]
	s_xor_b64 s[4:5], exec, s[4:5]
	s_cbranch_execnz .LBB21_23
.LBB21_21:
	s_or_b64 exec, exec, s[4:5]
	s_and_b64 s[0:1], s[0:1], exec
	s_andn2_saveexec_b64 s[2:3], s[2:3]
	s_cbranch_execz .LBB21_17
.LBB21_22:
	s_or_b64 s[0:1], s[0:1], exec
	s_trap 2
	s_or_b64 exec, exec, s[2:3]
	s_and_b64 exec, exec, s[0:1]
	s_cbranch_execnz .LBB21_18
	s_branch .LBB21_19
.LBB21_23:
	s_mov_b64 s[0:1], exec
	s_trap 2
	s_branch .LBB21_21
	.section	.rodata,"a",@progbits
	.p2align	6, 0x0
	.amdhsa_kernel _ZN2at6native12_GLOBAL__N_126nll_loss2d_backward_kernelIfEEvPT_PKS3_PKlS6_S6_biiil
		.amdhsa_group_segment_fixed_size 0
		.amdhsa_private_segment_fixed_size 0
		.amdhsa_kernarg_size 320
		.amdhsa_user_sgpr_count 6
		.amdhsa_user_sgpr_private_segment_buffer 1
		.amdhsa_user_sgpr_dispatch_ptr 0
		.amdhsa_user_sgpr_queue_ptr 0
		.amdhsa_user_sgpr_kernarg_segment_ptr 1
		.amdhsa_user_sgpr_dispatch_id 0
		.amdhsa_user_sgpr_flat_scratch_init 0
		.amdhsa_user_sgpr_private_segment_size 0
		.amdhsa_uses_dynamic_stack 0
		.amdhsa_system_sgpr_private_segment_wavefront_offset 0
		.amdhsa_system_sgpr_workgroup_id_x 1
		.amdhsa_system_sgpr_workgroup_id_y 0
		.amdhsa_system_sgpr_workgroup_id_z 0
		.amdhsa_system_sgpr_workgroup_info 0
		.amdhsa_system_vgpr_workitem_id 0
		.amdhsa_next_free_vgpr 12
		.amdhsa_next_free_sgpr 40
		.amdhsa_reserve_vcc 1
		.amdhsa_reserve_flat_scratch 0
		.amdhsa_float_round_mode_32 0
		.amdhsa_float_round_mode_16_64 0
		.amdhsa_float_denorm_mode_32 3
		.amdhsa_float_denorm_mode_16_64 3
		.amdhsa_dx10_clamp 1
		.amdhsa_ieee_mode 1
		.amdhsa_fp16_overflow 0
		.amdhsa_exception_fp_ieee_invalid_op 0
		.amdhsa_exception_fp_denorm_src 0
		.amdhsa_exception_fp_ieee_div_zero 0
		.amdhsa_exception_fp_ieee_overflow 0
		.amdhsa_exception_fp_ieee_underflow 0
		.amdhsa_exception_fp_ieee_inexact 0
		.amdhsa_exception_int_div_zero 0
	.end_amdhsa_kernel
	.section	.text._ZN2at6native12_GLOBAL__N_126nll_loss2d_backward_kernelIfEEvPT_PKS3_PKlS6_S6_biiil,"axG",@progbits,_ZN2at6native12_GLOBAL__N_126nll_loss2d_backward_kernelIfEEvPT_PKS3_PKlS6_S6_biiil,comdat
.Lfunc_end21:
	.size	_ZN2at6native12_GLOBAL__N_126nll_loss2d_backward_kernelIfEEvPT_PKS3_PKlS6_S6_biiil, .Lfunc_end21-_ZN2at6native12_GLOBAL__N_126nll_loss2d_backward_kernelIfEEvPT_PKS3_PKlS6_S6_biiil
                                        ; -- End function
	.set _ZN2at6native12_GLOBAL__N_126nll_loss2d_backward_kernelIfEEvPT_PKS3_PKlS6_S6_biiil.num_vgpr, 12
	.set _ZN2at6native12_GLOBAL__N_126nll_loss2d_backward_kernelIfEEvPT_PKS3_PKlS6_S6_biiil.num_agpr, 0
	.set _ZN2at6native12_GLOBAL__N_126nll_loss2d_backward_kernelIfEEvPT_PKS3_PKlS6_S6_biiil.numbered_sgpr, 40
	.set _ZN2at6native12_GLOBAL__N_126nll_loss2d_backward_kernelIfEEvPT_PKS3_PKlS6_S6_biiil.num_named_barrier, 0
	.set _ZN2at6native12_GLOBAL__N_126nll_loss2d_backward_kernelIfEEvPT_PKS3_PKlS6_S6_biiil.private_seg_size, 0
	.set _ZN2at6native12_GLOBAL__N_126nll_loss2d_backward_kernelIfEEvPT_PKS3_PKlS6_S6_biiil.uses_vcc, 1
	.set _ZN2at6native12_GLOBAL__N_126nll_loss2d_backward_kernelIfEEvPT_PKS3_PKlS6_S6_biiil.uses_flat_scratch, 0
	.set _ZN2at6native12_GLOBAL__N_126nll_loss2d_backward_kernelIfEEvPT_PKS3_PKlS6_S6_biiil.has_dyn_sized_stack, 0
	.set _ZN2at6native12_GLOBAL__N_126nll_loss2d_backward_kernelIfEEvPT_PKS3_PKlS6_S6_biiil.has_recursion, 0
	.set _ZN2at6native12_GLOBAL__N_126nll_loss2d_backward_kernelIfEEvPT_PKS3_PKlS6_S6_biiil.has_indirect_call, 0
	.section	.AMDGPU.csdata,"",@progbits
; Kernel info:
; codeLenInByte = 864
; TotalNumSgprs: 44
; NumVgprs: 12
; ScratchSize: 0
; MemoryBound: 0
; FloatMode: 240
; IeeeMode: 1
; LDSByteSize: 0 bytes/workgroup (compile time only)
; SGPRBlocks: 5
; VGPRBlocks: 2
; NumSGPRsForWavesPerEU: 44
; NumVGPRsForWavesPerEU: 12
; Occupancy: 10
; WaveLimiterHint : 1
; COMPUTE_PGM_RSRC2:SCRATCH_EN: 0
; COMPUTE_PGM_RSRC2:USER_SGPR: 6
; COMPUTE_PGM_RSRC2:TRAP_HANDLER: 0
; COMPUTE_PGM_RSRC2:TGID_X_EN: 1
; COMPUTE_PGM_RSRC2:TGID_Y_EN: 0
; COMPUTE_PGM_RSRC2:TGID_Z_EN: 0
; COMPUTE_PGM_RSRC2:TIDIG_COMP_CNT: 0
	.section	.text._ZN2at6native12_GLOBAL__N_126nll_loss2d_backward_kernelIN3c104HalfEEEvPT_PKS5_PKlS8_S8_biiil,"axG",@progbits,_ZN2at6native12_GLOBAL__N_126nll_loss2d_backward_kernelIN3c104HalfEEEvPT_PKS5_PKlS8_S8_biiil,comdat
	.globl	_ZN2at6native12_GLOBAL__N_126nll_loss2d_backward_kernelIN3c104HalfEEEvPT_PKS5_PKlS8_S8_biiil ; -- Begin function _ZN2at6native12_GLOBAL__N_126nll_loss2d_backward_kernelIN3c104HalfEEEvPT_PKS5_PKlS8_S8_biiil
	.p2align	8
	.type	_ZN2at6native12_GLOBAL__N_126nll_loss2d_backward_kernelIN3c104HalfEEEvPT_PKS5_PKlS8_S8_biiil,@function
_ZN2at6native12_GLOBAL__N_126nll_loss2d_backward_kernelIN3c104HalfEEEvPT_PKS5_PKlS8_S8_biiil: ; @_ZN2at6native12_GLOBAL__N_126nll_loss2d_backward_kernelIN3c104HalfEEEvPT_PKS5_PKlS8_S8_biiil
; %bb.0:
	s_load_dwordx8 s[8:15], s[4:5], 0x0
	v_mov_b32_e32 v1, 0
	s_waitcnt lgkmcnt(0)
	global_load_ushort v8, v1, s[10:11]
	s_load_dwordx4 s[16:19], s[4:5], 0x28
	s_load_dwordx2 s[0:1], s[4:5], 0x20
	s_waitcnt lgkmcnt(0)
	s_bitcmp0_b32 s16, 0
	s_cbranch_scc1 .LBB22_2
; %bb.1:
	global_load_ushort v1, v1, s[0:1]
	s_waitcnt vmcnt(1)
	v_cvt_f32_f16_e32 v4, v8
	s_waitcnt vmcnt(0)
	v_cvt_f32_f16_e32 v2, v1
	v_rcp_f32_e32 v3, v2
	v_mul_f32_e32 v5, v4, v3
	v_mad_f32 v6, -v2, v5, v4
	v_mac_f32_e32 v5, v6, v3
	v_mad_f32 v2, -v2, v5, v4
	v_mul_f32_e32 v2, v2, v3
	v_and_b32_e32 v2, 0xff800000, v2
	v_add_f32_e32 v2, v2, v5
	v_cvt_f16_f32_e32 v2, v2
	v_div_fixup_f16 v8, v2, v1, v8
.LBB22_2:
	v_cvt_f32_u32_e32 v1, s19
	s_sub_i32 s0, 0, s19
	s_load_dword s1, s[4:5], 0x4c
	v_rcp_iflag_f32_e32 v1, v1
	v_mul_f32_e32 v1, 0x4f7ffffe, v1
	v_cvt_u32_f32_e32 v1, v1
	v_readfirstlane_b32 s2, v1
	s_mul_i32 s0, s0, s2
	s_mul_hi_u32 s0, s2, s0
	s_add_i32 s2, s2, s0
	s_mul_hi_u32 s0, s6, s2
	s_mul_i32 s2, s0, s19
	s_sub_i32 s2, s6, s2
	s_add_i32 s3, s0, 1
	s_sub_i32 s7, s2, s19
	s_cmp_ge_u32 s2, s19
	s_cselect_b32 s0, s3, s0
	s_cselect_b32 s2, s7, s2
	s_add_i32 s3, s0, 1
	s_cmp_ge_u32 s2, s19
	s_cselect_b32 s0, s3, s0
	s_mul_i32 s2, s0, s19
	s_waitcnt lgkmcnt(0)
	s_and_b32 s1, s1, 0xffff
	s_sub_i32 s2, s6, s2
	s_mul_i32 s2, s2, s1
	v_add_u32_e32 v0, s2, v0
	v_cmp_gt_i32_e32 vcc, s18, v0
	s_and_saveexec_b64 s[2:3], vcc
	s_cbranch_execz .LBB22_19
; %bb.3:
	s_mul_i32 s0, s0, s18
	s_mul_i32 s2, s0, s17
	s_ashr_i32 s3, s2, 31
	s_mul_i32 s6, s19, s1
	s_ashr_i32 s1, s0, 31
	s_lshl_b64 s[2:3], s[2:3], 1
	s_add_u32 s19, s8, s2
	s_addc_u32 s33, s9, s3
	s_ashr_i32 s9, s17, 31
	s_ashr_i32 s36, s18, 31
	s_cmp_lg_u64 s[14:15], 0
	s_cselect_b64 s[2:3], -1, 0
	s_lshl_b64 s[0:1], s[0:1], 3
	v_ashrrev_i32_e32 v1, 31, v0
	s_load_dwordx2 s[4:5], s[4:5], 0x38
	v_lshlrev_b64 v[2:3], 3, v[0:1]
	s_add_u32 s0, s12, s0
	s_addc_u32 s1, s13, s1
	v_mov_b32_e32 v4, s1
	v_add_co_u32_e32 v2, vcc, s0, v2
	v_addc_co_u32_e32 v3, vcc, v4, v3, vcc
	s_ashr_i32 s7, s6, 31
	v_cndmask_b32_e64 v4, 0, 1, s[2:3]
	s_waitcnt vmcnt(0)
	v_xor_b32_e32 v9, 0x8000, v8
	s_mov_b32 s8, s17
	s_mov_b64 s[10:11], 0
	s_lshl_b64 s[16:17], s[6:7], 3
	v_cmp_ne_u32_e64 s[0:1], 1, v4
                                        ; implicit-def: $sgpr20_sgpr21
                                        ; implicit-def: $sgpr12_sgpr13
                                        ; implicit-def: $sgpr22_sgpr23
                                        ; implicit-def: $sgpr24_sgpr25
	s_branch .LBB22_5
.LBB22_4:                               ;   in Loop: Header=BB22_5 Depth=1
	s_or_b64 exec, exec, s[2:3]
	s_and_b64 s[2:3], exec, s[26:27]
	s_or_b64 s[10:11], s[2:3], s[10:11]
	s_andn2_b64 s[2:3], s[12:13], exec
	s_and_b64 s[12:13], s[24:25], exec
	s_or_b64 s[12:13], s[2:3], s[12:13]
	s_andn2_b64 s[2:3], s[20:21], exec
	s_and_b64 s[20:21], s[22:23], exec
	s_or_b64 s[20:21], s[2:3], s[20:21]
	s_andn2_b64 exec, exec, s[10:11]
	s_cbranch_execz .LBB22_15
.LBB22_5:                               ; =>This Inner Loop Header: Depth=1
	global_load_dwordx2 v[4:5], v[2:3], off
	s_mov_b64 s[34:35], -1
                                        ; implicit-def: $sgpr28_sgpr29
                                        ; implicit-def: $sgpr30_sgpr31
	s_waitcnt vmcnt(0) lgkmcnt(0)
	v_cmp_ne_u64_e32 vcc, s[4:5], v[4:5]
	s_and_saveexec_b64 s[26:27], vcc
	s_cbranch_execz .LBB22_13
; %bb.6:                                ;   in Loop: Header=BB22_5 Depth=1
	v_cmp_lt_i64_e32 vcc, -1, v[4:5]
	v_cmp_gt_i64_e64 s[2:3], s[8:9], v[4:5]
	s_mov_b64 s[28:29], -1
	s_and_b64 s[38:39], vcc, s[2:3]
	s_mov_b64 s[34:35], 0
	s_mov_b64 s[30:31], 0
	s_and_saveexec_b64 s[2:3], s[38:39]
	s_cbranch_execz .LBB22_12
; %bb.7:                                ;   in Loop: Header=BB22_5 Depth=1
	v_mad_u64_u32 v[6:7], s[28:29], v4, s18, v[0:1]
	v_mul_lo_u32 v10, v4, s36
	v_mul_lo_u32 v11, v5, s18
	v_add3_u32 v7, v11, v7, v10
	v_cmp_lt_i64_e32 vcc, -1, v[6:7]
	s_and_saveexec_b64 s[28:29], vcc
	s_cbranch_execz .LBB22_11
; %bb.8:                                ;   in Loop: Header=BB22_5 Depth=1
	s_and_b64 vcc, exec, s[0:1]
	v_mov_b32_e32 v10, v9
	s_cbranch_vccnz .LBB22_10
; %bb.9:                                ;   in Loop: Header=BB22_5 Depth=1
	v_lshlrev_b64 v[4:5], 1, v[4:5]
	v_mov_b32_e32 v10, s15
	v_add_co_u32_e32 v4, vcc, s14, v4
	v_addc_co_u32_e32 v5, vcc, v10, v5, vcc
	global_load_ushort v4, v[4:5], off
	s_waitcnt vmcnt(0)
	v_mul_f16_e64 v10, v4, -v8
.LBB22_10:                              ;   in Loop: Header=BB22_5 Depth=1
	v_lshlrev_b64 v[4:5], 1, v[6:7]
	v_mov_b32_e32 v6, s33
	v_add_co_u32_e32 v4, vcc, s19, v4
	s_mov_b64 s[34:35], exec
	v_addc_co_u32_e32 v5, vcc, v6, v5, vcc
	global_store_short v[4:5], v10, off
.LBB22_11:                              ;   in Loop: Header=BB22_5 Depth=1
	s_or_b64 exec, exec, s[28:29]
	s_mov_b64 s[30:31], exec
	s_xor_b64 s[28:29], exec, -1
	s_and_b64 s[34:35], s[34:35], exec
.LBB22_12:                              ;   in Loop: Header=BB22_5 Depth=1
	s_or_b64 exec, exec, s[2:3]
	s_orn2_b64 s[34:35], s[34:35], exec
.LBB22_13:                              ;   in Loop: Header=BB22_5 Depth=1
	s_or_b64 exec, exec, s[26:27]
	s_andn2_b64 s[2:3], s[24:25], exec
	s_and_b64 s[24:25], s[30:31], exec
	s_or_b64 s[24:25], s[2:3], s[24:25]
	s_andn2_b64 s[2:3], s[22:23], exec
	s_and_b64 s[22:23], s[28:29], exec
	s_mov_b64 s[26:27], -1
	s_or_b64 s[22:23], s[2:3], s[22:23]
	s_and_saveexec_b64 s[2:3], s[34:35]
	s_cbranch_execz .LBB22_4
; %bb.14:                               ;   in Loop: Header=BB22_5 Depth=1
	v_mov_b32_e32 v4, s7
	v_add_co_u32_e32 v0, vcc, s6, v0
	v_addc_co_u32_e32 v1, vcc, v1, v4, vcc
	v_mov_b32_e32 v4, s17
	v_add_co_u32_e32 v2, vcc, s16, v2
	v_addc_co_u32_e32 v3, vcc, v3, v4, vcc
	v_cmp_le_i32_e32 vcc, s18, v0
	s_andn2_b64 s[24:25], s[24:25], exec
	s_andn2_b64 s[22:23], s[22:23], exec
	s_orn2_b64 s[26:27], vcc, exec
	s_branch .LBB22_4
.LBB22_15:
	s_or_b64 exec, exec, s[10:11]
	s_xor_b64 s[2:3], s[20:21], -1
	s_mov_b64 s[0:1], 0
	s_and_saveexec_b64 s[4:5], s[2:3]
	s_xor_b64 s[2:3], exec, s[4:5]
	s_cbranch_execnz .LBB22_20
; %bb.16:
	s_andn2_saveexec_b64 s[2:3], s[2:3]
	s_cbranch_execnz .LBB22_22
.LBB22_17:
	s_or_b64 exec, exec, s[2:3]
	s_and_b64 exec, exec, s[0:1]
.LBB22_18:
	; divergent unreachable
.LBB22_19:
	s_endpgm
.LBB22_20:
	s_and_saveexec_b64 s[4:5], s[12:13]
	s_xor_b64 s[4:5], exec, s[4:5]
	s_cbranch_execnz .LBB22_23
.LBB22_21:
	s_or_b64 exec, exec, s[4:5]
	s_and_b64 s[0:1], s[0:1], exec
	s_andn2_saveexec_b64 s[2:3], s[2:3]
	s_cbranch_execz .LBB22_17
.LBB22_22:
	s_or_b64 s[0:1], s[0:1], exec
	s_trap 2
	s_or_b64 exec, exec, s[2:3]
	s_and_b64 exec, exec, s[0:1]
	s_cbranch_execnz .LBB22_18
	s_branch .LBB22_19
.LBB22_23:
	s_mov_b64 s[0:1], exec
	s_trap 2
	s_branch .LBB22_21
	.section	.rodata,"a",@progbits
	.p2align	6, 0x0
	.amdhsa_kernel _ZN2at6native12_GLOBAL__N_126nll_loss2d_backward_kernelIN3c104HalfEEEvPT_PKS5_PKlS8_S8_biiil
		.amdhsa_group_segment_fixed_size 0
		.amdhsa_private_segment_fixed_size 0
		.amdhsa_kernarg_size 320
		.amdhsa_user_sgpr_count 6
		.amdhsa_user_sgpr_private_segment_buffer 1
		.amdhsa_user_sgpr_dispatch_ptr 0
		.amdhsa_user_sgpr_queue_ptr 0
		.amdhsa_user_sgpr_kernarg_segment_ptr 1
		.amdhsa_user_sgpr_dispatch_id 0
		.amdhsa_user_sgpr_flat_scratch_init 0
		.amdhsa_user_sgpr_private_segment_size 0
		.amdhsa_uses_dynamic_stack 0
		.amdhsa_system_sgpr_private_segment_wavefront_offset 0
		.amdhsa_system_sgpr_workgroup_id_x 1
		.amdhsa_system_sgpr_workgroup_id_y 0
		.amdhsa_system_sgpr_workgroup_id_z 0
		.amdhsa_system_sgpr_workgroup_info 0
		.amdhsa_system_vgpr_workitem_id 0
		.amdhsa_next_free_vgpr 12
		.amdhsa_next_free_sgpr 40
		.amdhsa_reserve_vcc 1
		.amdhsa_reserve_flat_scratch 0
		.amdhsa_float_round_mode_32 0
		.amdhsa_float_round_mode_16_64 0
		.amdhsa_float_denorm_mode_32 3
		.amdhsa_float_denorm_mode_16_64 3
		.amdhsa_dx10_clamp 1
		.amdhsa_ieee_mode 1
		.amdhsa_fp16_overflow 0
		.amdhsa_exception_fp_ieee_invalid_op 0
		.amdhsa_exception_fp_denorm_src 0
		.amdhsa_exception_fp_ieee_div_zero 0
		.amdhsa_exception_fp_ieee_overflow 0
		.amdhsa_exception_fp_ieee_underflow 0
		.amdhsa_exception_fp_ieee_inexact 0
		.amdhsa_exception_int_div_zero 0
	.end_amdhsa_kernel
	.section	.text._ZN2at6native12_GLOBAL__N_126nll_loss2d_backward_kernelIN3c104HalfEEEvPT_PKS5_PKlS8_S8_biiil,"axG",@progbits,_ZN2at6native12_GLOBAL__N_126nll_loss2d_backward_kernelIN3c104HalfEEEvPT_PKS5_PKlS8_S8_biiil,comdat
.Lfunc_end22:
	.size	_ZN2at6native12_GLOBAL__N_126nll_loss2d_backward_kernelIN3c104HalfEEEvPT_PKS5_PKlS8_S8_biiil, .Lfunc_end22-_ZN2at6native12_GLOBAL__N_126nll_loss2d_backward_kernelIN3c104HalfEEEvPT_PKS5_PKlS8_S8_biiil
                                        ; -- End function
	.set _ZN2at6native12_GLOBAL__N_126nll_loss2d_backward_kernelIN3c104HalfEEEvPT_PKS5_PKlS8_S8_biiil.num_vgpr, 12
	.set _ZN2at6native12_GLOBAL__N_126nll_loss2d_backward_kernelIN3c104HalfEEEvPT_PKS5_PKlS8_S8_biiil.num_agpr, 0
	.set _ZN2at6native12_GLOBAL__N_126nll_loss2d_backward_kernelIN3c104HalfEEEvPT_PKS5_PKlS8_S8_biiil.numbered_sgpr, 40
	.set _ZN2at6native12_GLOBAL__N_126nll_loss2d_backward_kernelIN3c104HalfEEEvPT_PKS5_PKlS8_S8_biiil.num_named_barrier, 0
	.set _ZN2at6native12_GLOBAL__N_126nll_loss2d_backward_kernelIN3c104HalfEEEvPT_PKS5_PKlS8_S8_biiil.private_seg_size, 0
	.set _ZN2at6native12_GLOBAL__N_126nll_loss2d_backward_kernelIN3c104HalfEEEvPT_PKS5_PKlS8_S8_biiil.uses_vcc, 1
	.set _ZN2at6native12_GLOBAL__N_126nll_loss2d_backward_kernelIN3c104HalfEEEvPT_PKS5_PKlS8_S8_biiil.uses_flat_scratch, 0
	.set _ZN2at6native12_GLOBAL__N_126nll_loss2d_backward_kernelIN3c104HalfEEEvPT_PKS5_PKlS8_S8_biiil.has_dyn_sized_stack, 0
	.set _ZN2at6native12_GLOBAL__N_126nll_loss2d_backward_kernelIN3c104HalfEEEvPT_PKS5_PKlS8_S8_biiil.has_recursion, 0
	.set _ZN2at6native12_GLOBAL__N_126nll_loss2d_backward_kernelIN3c104HalfEEEvPT_PKS5_PKlS8_S8_biiil.has_indirect_call, 0
	.section	.AMDGPU.csdata,"",@progbits
; Kernel info:
; codeLenInByte = 856
; TotalNumSgprs: 44
; NumVgprs: 12
; ScratchSize: 0
; MemoryBound: 0
; FloatMode: 240
; IeeeMode: 1
; LDSByteSize: 0 bytes/workgroup (compile time only)
; SGPRBlocks: 5
; VGPRBlocks: 2
; NumSGPRsForWavesPerEU: 44
; NumVGPRsForWavesPerEU: 12
; Occupancy: 10
; WaveLimiterHint : 1
; COMPUTE_PGM_RSRC2:SCRATCH_EN: 0
; COMPUTE_PGM_RSRC2:USER_SGPR: 6
; COMPUTE_PGM_RSRC2:TRAP_HANDLER: 0
; COMPUTE_PGM_RSRC2:TGID_X_EN: 1
; COMPUTE_PGM_RSRC2:TGID_Y_EN: 0
; COMPUTE_PGM_RSRC2:TGID_Z_EN: 0
; COMPUTE_PGM_RSRC2:TIDIG_COMP_CNT: 0
	.section	.text._ZN2at6native12_GLOBAL__N_126nll_loss2d_backward_kernelIN3c108BFloat16EEEvPT_PKS5_PKlS8_S8_biiil,"axG",@progbits,_ZN2at6native12_GLOBAL__N_126nll_loss2d_backward_kernelIN3c108BFloat16EEEvPT_PKS5_PKlS8_S8_biiil,comdat
	.globl	_ZN2at6native12_GLOBAL__N_126nll_loss2d_backward_kernelIN3c108BFloat16EEEvPT_PKS5_PKlS8_S8_biiil ; -- Begin function _ZN2at6native12_GLOBAL__N_126nll_loss2d_backward_kernelIN3c108BFloat16EEEvPT_PKS5_PKlS8_S8_biiil
	.p2align	8
	.type	_ZN2at6native12_GLOBAL__N_126nll_loss2d_backward_kernelIN3c108BFloat16EEEvPT_PKS5_PKlS8_S8_biiil,@function
_ZN2at6native12_GLOBAL__N_126nll_loss2d_backward_kernelIN3c108BFloat16EEEvPT_PKS5_PKlS8_S8_biiil: ; @_ZN2at6native12_GLOBAL__N_126nll_loss2d_backward_kernelIN3c108BFloat16EEEvPT_PKS5_PKlS8_S8_biiil
; %bb.0:
	s_load_dwordx8 s[8:15], s[4:5], 0x0
	v_mov_b32_e32 v1, 0
	s_waitcnt lgkmcnt(0)
	global_load_ushort v2, v1, s[10:11]
	s_load_dwordx4 s[16:19], s[4:5], 0x28
	s_load_dwordx2 s[0:1], s[4:5], 0x20
	s_waitcnt lgkmcnt(0)
	s_bitcmp0_b32 s16, 0
	s_waitcnt vmcnt(0)
	v_readfirstlane_b32 s2, v2
	s_cbranch_scc1 .LBB23_2
; %bb.1:
	global_load_ushort v1, v1, s[0:1]
	s_lshl_b32 s2, s2, 16
	s_waitcnt vmcnt(0)
	v_lshlrev_b32_e32 v1, 16, v1
	v_div_scale_f32 v2, s[0:1], v1, v1, s2
	v_div_scale_f32 v3, vcc, s2, v1, s2
	v_rcp_f32_e32 v4, v2
	v_fma_f32 v5, -v2, v4, 1.0
	v_fmac_f32_e32 v4, v5, v4
	v_mul_f32_e32 v5, v3, v4
	v_fma_f32 v6, -v2, v5, v3
	v_fmac_f32_e32 v5, v6, v4
	v_fma_f32 v2, -v2, v5, v3
	v_div_fmas_f32 v2, v2, v4, v5
	v_div_fixup_f32 v1, v2, v1, s2
	v_readfirstlane_b32 s0, v1
	s_bfe_u32 s1, s0, 0x10010
	s_add_i32 s0, s0, s1
	s_addk_i32 s0, 0x7fff
	s_lshr_b32 s2, s0, 16
	v_cmp_o_f32_e32 vcc, v1, v1
	s_and_b64 s[0:1], vcc, exec
	s_cselect_b32 s2, s2, 0x7fc0
.LBB23_2:
	v_cvt_f32_u32_e32 v1, s19
	s_sub_i32 s0, 0, s19
	s_load_dword s1, s[4:5], 0x4c
	v_rcp_iflag_f32_e32 v1, v1
	v_mul_f32_e32 v1, 0x4f7ffffe, v1
	v_cvt_u32_f32_e32 v1, v1
	v_readfirstlane_b32 s3, v1
	s_mul_i32 s0, s0, s3
	s_mul_hi_u32 s0, s3, s0
	s_add_i32 s3, s3, s0
	s_mul_hi_u32 s0, s6, s3
	s_mul_i32 s3, s0, s19
	s_sub_i32 s3, s6, s3
	s_add_i32 s7, s0, 1
	s_sub_i32 s10, s3, s19
	s_cmp_ge_u32 s3, s19
	s_cselect_b32 s0, s7, s0
	s_cselect_b32 s3, s10, s3
	s_add_i32 s7, s0, 1
	s_cmp_ge_u32 s3, s19
	s_cselect_b32 s0, s7, s0
	s_mul_i32 s3, s0, s19
	s_waitcnt lgkmcnt(0)
	s_and_b32 s1, s1, 0xffff
	s_sub_i32 s3, s6, s3
	s_mul_i32 s3, s3, s1
	v_add_u32_e32 v0, s3, v0
	v_cmp_gt_i32_e32 vcc, s18, v0
	s_and_saveexec_b64 s[6:7], vcc
	s_cbranch_execz .LBB23_19
; %bb.3:
	s_lshl_b32 s2, s2, 16
	s_xor_b32 s3, s2, 0x80000000
	s_bfe_u32 s6, s3, 0x10010
	s_add_i32 s3, s3, s6
	s_addk_i32 s3, 0x7fff
	s_lshr_b32 s6, s3, 16
	v_cmp_o_f32_e64 s[2:3], s2, s2
	s_and_b64 s[2:3], s[2:3], exec
	s_mul_i32 s0, s0, s18
	s_mul_i32 s2, s0, s17
	s_cselect_b32 s36, s6, 0x7fc0
	s_ashr_i32 s3, s2, 31
	s_mul_i32 s6, s19, s1
	s_ashr_i32 s1, s0, 31
	s_lshl_b64 s[2:3], s[2:3], 1
	s_add_u32 s19, s8, s2
	s_addc_u32 s37, s9, s3
	s_ashr_i32 s9, s17, 31
	s_ashr_i32 s38, s18, 31
	s_cmp_lg_u64 s[14:15], 0
	s_cselect_b64 s[2:3], -1, 0
	s_lshl_b32 s39, s36, 16
	s_lshl_b64 s[0:1], s[0:1], 3
	v_ashrrev_i32_e32 v1, 31, v0
	s_load_dwordx2 s[4:5], s[4:5], 0x38
	v_lshlrev_b64 v[2:3], 3, v[0:1]
	s_add_u32 s0, s12, s0
	s_addc_u32 s1, s13, s1
	v_mov_b32_e32 v4, s1
	v_add_co_u32_e32 v2, vcc, s0, v2
	v_addc_co_u32_e32 v3, vcc, v4, v3, vcc
	s_ashr_i32 s7, s6, 31
	v_cndmask_b32_e64 v4, 0, 1, s[2:3]
	s_movk_i32 s33, 0x7fff
	s_mov_b32 s8, s17
	s_mov_b64 s[10:11], 0
	s_lshl_b64 s[16:17], s[6:7], 3
	v_cmp_ne_u32_e64 s[0:1], 1, v4
	v_mov_b32_e32 v8, 0x7fc0
                                        ; implicit-def: $sgpr20_sgpr21
                                        ; implicit-def: $sgpr12_sgpr13
                                        ; implicit-def: $sgpr22_sgpr23
                                        ; implicit-def: $sgpr24_sgpr25
	s_branch .LBB23_5
.LBB23_4:                               ;   in Loop: Header=BB23_5 Depth=1
	s_or_b64 exec, exec, s[2:3]
	s_and_b64 s[2:3], exec, s[26:27]
	s_or_b64 s[10:11], s[2:3], s[10:11]
	s_andn2_b64 s[2:3], s[12:13], exec
	s_and_b64 s[12:13], s[24:25], exec
	s_or_b64 s[12:13], s[2:3], s[12:13]
	s_andn2_b64 s[2:3], s[20:21], exec
	s_and_b64 s[20:21], s[22:23], exec
	s_or_b64 s[20:21], s[2:3], s[20:21]
	s_andn2_b64 exec, exec, s[10:11]
	s_cbranch_execz .LBB23_15
.LBB23_5:                               ; =>This Inner Loop Header: Depth=1
	global_load_dwordx2 v[4:5], v[2:3], off
	s_mov_b64 s[34:35], -1
                                        ; implicit-def: $sgpr28_sgpr29
                                        ; implicit-def: $sgpr30_sgpr31
	s_waitcnt vmcnt(0) lgkmcnt(0)
	v_cmp_ne_u64_e32 vcc, s[4:5], v[4:5]
	s_and_saveexec_b64 s[26:27], vcc
	s_cbranch_execz .LBB23_13
; %bb.6:                                ;   in Loop: Header=BB23_5 Depth=1
	v_cmp_lt_i64_e32 vcc, -1, v[4:5]
	v_cmp_gt_i64_e64 s[2:3], s[8:9], v[4:5]
	s_mov_b64 s[28:29], -1
	s_and_b64 s[40:41], vcc, s[2:3]
	s_mov_b64 s[34:35], 0
	s_mov_b64 s[30:31], 0
	s_and_saveexec_b64 s[2:3], s[40:41]
	s_cbranch_execz .LBB23_12
; %bb.7:                                ;   in Loop: Header=BB23_5 Depth=1
	v_mad_u64_u32 v[6:7], s[28:29], v4, s18, v[0:1]
	v_mul_lo_u32 v9, v4, s38
	v_mul_lo_u32 v10, v5, s18
	v_add3_u32 v7, v10, v7, v9
	v_cmp_lt_i64_e32 vcc, -1, v[6:7]
	s_and_saveexec_b64 s[28:29], vcc
	s_cbranch_execz .LBB23_11
; %bb.8:                                ;   in Loop: Header=BB23_5 Depth=1
	s_and_b64 vcc, exec, s[0:1]
	v_mov_b32_e32 v9, s36
	s_cbranch_vccnz .LBB23_10
; %bb.9:                                ;   in Loop: Header=BB23_5 Depth=1
	v_lshlrev_b64 v[4:5], 1, v[4:5]
	v_mov_b32_e32 v9, s15
	v_add_co_u32_e32 v4, vcc, s14, v4
	v_addc_co_u32_e32 v5, vcc, v9, v5, vcc
	global_load_ushort v4, v[4:5], off
	s_waitcnt vmcnt(0)
	v_lshlrev_b32_e32 v4, 16, v4
	v_mul_f32_e32 v4, s39, v4
	v_bfe_u32 v5, v4, 16, 1
	v_cmp_o_f32_e32 vcc, v4, v4
	v_add3_u32 v4, v4, v5, s33
	v_cndmask_b32_sdwa v9, v8, v4, vcc dst_sel:DWORD dst_unused:UNUSED_PAD src0_sel:DWORD src1_sel:WORD_1
.LBB23_10:                              ;   in Loop: Header=BB23_5 Depth=1
	v_lshlrev_b64 v[4:5], 1, v[6:7]
	v_mov_b32_e32 v6, s37
	v_add_co_u32_e32 v4, vcc, s19, v4
	s_mov_b64 s[34:35], exec
	v_addc_co_u32_e32 v5, vcc, v6, v5, vcc
	global_store_short v[4:5], v9, off
.LBB23_11:                              ;   in Loop: Header=BB23_5 Depth=1
	s_or_b64 exec, exec, s[28:29]
	s_mov_b64 s[30:31], exec
	s_xor_b64 s[28:29], exec, -1
	s_and_b64 s[34:35], s[34:35], exec
.LBB23_12:                              ;   in Loop: Header=BB23_5 Depth=1
	s_or_b64 exec, exec, s[2:3]
	s_orn2_b64 s[34:35], s[34:35], exec
.LBB23_13:                              ;   in Loop: Header=BB23_5 Depth=1
	s_or_b64 exec, exec, s[26:27]
	s_andn2_b64 s[2:3], s[24:25], exec
	s_and_b64 s[24:25], s[30:31], exec
	s_or_b64 s[24:25], s[2:3], s[24:25]
	s_andn2_b64 s[2:3], s[22:23], exec
	s_and_b64 s[22:23], s[28:29], exec
	s_mov_b64 s[26:27], -1
	s_or_b64 s[22:23], s[2:3], s[22:23]
	s_and_saveexec_b64 s[2:3], s[34:35]
	s_cbranch_execz .LBB23_4
; %bb.14:                               ;   in Loop: Header=BB23_5 Depth=1
	v_mov_b32_e32 v4, s7
	v_add_co_u32_e32 v0, vcc, s6, v0
	v_addc_co_u32_e32 v1, vcc, v1, v4, vcc
	v_mov_b32_e32 v4, s17
	v_add_co_u32_e32 v2, vcc, s16, v2
	v_addc_co_u32_e32 v3, vcc, v3, v4, vcc
	v_cmp_le_i32_e32 vcc, s18, v0
	s_andn2_b64 s[24:25], s[24:25], exec
	s_andn2_b64 s[22:23], s[22:23], exec
	s_orn2_b64 s[26:27], vcc, exec
	s_branch .LBB23_4
.LBB23_15:
	s_or_b64 exec, exec, s[10:11]
	s_xor_b64 s[2:3], s[20:21], -1
	s_mov_b64 s[0:1], 0
	s_and_saveexec_b64 s[4:5], s[2:3]
	s_xor_b64 s[2:3], exec, s[4:5]
	s_cbranch_execnz .LBB23_20
; %bb.16:
	s_andn2_saveexec_b64 s[2:3], s[2:3]
	s_cbranch_execnz .LBB23_22
.LBB23_17:
	s_or_b64 exec, exec, s[2:3]
	s_and_b64 exec, exec, s[0:1]
.LBB23_18:
	; divergent unreachable
.LBB23_19:
	s_endpgm
.LBB23_20:
	s_and_saveexec_b64 s[4:5], s[12:13]
	s_xor_b64 s[4:5], exec, s[4:5]
	s_cbranch_execnz .LBB23_23
.LBB23_21:
	s_or_b64 exec, exec, s[4:5]
	s_and_b64 s[0:1], s[0:1], exec
	s_andn2_saveexec_b64 s[2:3], s[2:3]
	s_cbranch_execz .LBB23_17
.LBB23_22:
	s_or_b64 s[0:1], s[0:1], exec
	s_trap 2
	s_or_b64 exec, exec, s[2:3]
	s_and_b64 exec, exec, s[0:1]
	s_cbranch_execnz .LBB23_18
	s_branch .LBB23_19
.LBB23_23:
	s_mov_b64 s[0:1], exec
	s_trap 2
	s_branch .LBB23_21
	.section	.rodata,"a",@progbits
	.p2align	6, 0x0
	.amdhsa_kernel _ZN2at6native12_GLOBAL__N_126nll_loss2d_backward_kernelIN3c108BFloat16EEEvPT_PKS5_PKlS8_S8_biiil
		.amdhsa_group_segment_fixed_size 0
		.amdhsa_private_segment_fixed_size 0
		.amdhsa_kernarg_size 320
		.amdhsa_user_sgpr_count 6
		.amdhsa_user_sgpr_private_segment_buffer 1
		.amdhsa_user_sgpr_dispatch_ptr 0
		.amdhsa_user_sgpr_queue_ptr 0
		.amdhsa_user_sgpr_kernarg_segment_ptr 1
		.amdhsa_user_sgpr_dispatch_id 0
		.amdhsa_user_sgpr_flat_scratch_init 0
		.amdhsa_user_sgpr_private_segment_size 0
		.amdhsa_uses_dynamic_stack 0
		.amdhsa_system_sgpr_private_segment_wavefront_offset 0
		.amdhsa_system_sgpr_workgroup_id_x 1
		.amdhsa_system_sgpr_workgroup_id_y 0
		.amdhsa_system_sgpr_workgroup_id_z 0
		.amdhsa_system_sgpr_workgroup_info 0
		.amdhsa_system_vgpr_workitem_id 0
		.amdhsa_next_free_vgpr 11
		.amdhsa_next_free_sgpr 42
		.amdhsa_reserve_vcc 1
		.amdhsa_reserve_flat_scratch 0
		.amdhsa_float_round_mode_32 0
		.amdhsa_float_round_mode_16_64 0
		.amdhsa_float_denorm_mode_32 3
		.amdhsa_float_denorm_mode_16_64 3
		.amdhsa_dx10_clamp 1
		.amdhsa_ieee_mode 1
		.amdhsa_fp16_overflow 0
		.amdhsa_exception_fp_ieee_invalid_op 0
		.amdhsa_exception_fp_denorm_src 0
		.amdhsa_exception_fp_ieee_div_zero 0
		.amdhsa_exception_fp_ieee_overflow 0
		.amdhsa_exception_fp_ieee_underflow 0
		.amdhsa_exception_fp_ieee_inexact 0
		.amdhsa_exception_int_div_zero 0
	.end_amdhsa_kernel
	.section	.text._ZN2at6native12_GLOBAL__N_126nll_loss2d_backward_kernelIN3c108BFloat16EEEvPT_PKS5_PKlS8_S8_biiil,"axG",@progbits,_ZN2at6native12_GLOBAL__N_126nll_loss2d_backward_kernelIN3c108BFloat16EEEvPT_PKS5_PKlS8_S8_biiil,comdat
.Lfunc_end23:
	.size	_ZN2at6native12_GLOBAL__N_126nll_loss2d_backward_kernelIN3c108BFloat16EEEvPT_PKS5_PKlS8_S8_biiil, .Lfunc_end23-_ZN2at6native12_GLOBAL__N_126nll_loss2d_backward_kernelIN3c108BFloat16EEEvPT_PKS5_PKlS8_S8_biiil
                                        ; -- End function
	.set _ZN2at6native12_GLOBAL__N_126nll_loss2d_backward_kernelIN3c108BFloat16EEEvPT_PKS5_PKlS8_S8_biiil.num_vgpr, 11
	.set _ZN2at6native12_GLOBAL__N_126nll_loss2d_backward_kernelIN3c108BFloat16EEEvPT_PKS5_PKlS8_S8_biiil.num_agpr, 0
	.set _ZN2at6native12_GLOBAL__N_126nll_loss2d_backward_kernelIN3c108BFloat16EEEvPT_PKS5_PKlS8_S8_biiil.numbered_sgpr, 42
	.set _ZN2at6native12_GLOBAL__N_126nll_loss2d_backward_kernelIN3c108BFloat16EEEvPT_PKS5_PKlS8_S8_biiil.num_named_barrier, 0
	.set _ZN2at6native12_GLOBAL__N_126nll_loss2d_backward_kernelIN3c108BFloat16EEEvPT_PKS5_PKlS8_S8_biiil.private_seg_size, 0
	.set _ZN2at6native12_GLOBAL__N_126nll_loss2d_backward_kernelIN3c108BFloat16EEEvPT_PKS5_PKlS8_S8_biiil.uses_vcc, 1
	.set _ZN2at6native12_GLOBAL__N_126nll_loss2d_backward_kernelIN3c108BFloat16EEEvPT_PKS5_PKlS8_S8_biiil.uses_flat_scratch, 0
	.set _ZN2at6native12_GLOBAL__N_126nll_loss2d_backward_kernelIN3c108BFloat16EEEvPT_PKS5_PKlS8_S8_biiil.has_dyn_sized_stack, 0
	.set _ZN2at6native12_GLOBAL__N_126nll_loss2d_backward_kernelIN3c108BFloat16EEEvPT_PKS5_PKlS8_S8_biiil.has_recursion, 0
	.set _ZN2at6native12_GLOBAL__N_126nll_loss2d_backward_kernelIN3c108BFloat16EEEvPT_PKS5_PKlS8_S8_biiil.has_indirect_call, 0
	.section	.AMDGPU.csdata,"",@progbits
; Kernel info:
; codeLenInByte = 1000
; TotalNumSgprs: 46
; NumVgprs: 11
; ScratchSize: 0
; MemoryBound: 0
; FloatMode: 240
; IeeeMode: 1
; LDSByteSize: 0 bytes/workgroup (compile time only)
; SGPRBlocks: 5
; VGPRBlocks: 2
; NumSGPRsForWavesPerEU: 46
; NumVGPRsForWavesPerEU: 11
; Occupancy: 10
; WaveLimiterHint : 1
; COMPUTE_PGM_RSRC2:SCRATCH_EN: 0
; COMPUTE_PGM_RSRC2:USER_SGPR: 6
; COMPUTE_PGM_RSRC2:TRAP_HANDLER: 0
; COMPUTE_PGM_RSRC2:TGID_X_EN: 1
; COMPUTE_PGM_RSRC2:TGID_Y_EN: 0
; COMPUTE_PGM_RSRC2:TGID_Z_EN: 0
; COMPUTE_PGM_RSRC2:TIDIG_COMP_CNT: 0
	.section	.AMDGPU.gpr_maximums,"",@progbits
	.set amdgpu.max_num_vgpr, 0
	.set amdgpu.max_num_agpr, 0
	.set amdgpu.max_num_sgpr, 0
	.section	.AMDGPU.csdata,"",@progbits
	.type	__hip_cuid_4103f2d69ca2a2d3,@object ; @__hip_cuid_4103f2d69ca2a2d3
	.section	.bss,"aw",@nobits
	.globl	__hip_cuid_4103f2d69ca2a2d3
__hip_cuid_4103f2d69ca2a2d3:
	.byte	0                               ; 0x0
	.size	__hip_cuid_4103f2d69ca2a2d3, 1

	.ident	"AMD clang version 22.0.0git (https://github.com/RadeonOpenCompute/llvm-project roc-7.2.4 26084 f58b06dce1f9c15707c5f808fd002e18c2accf7e)"
	.section	".note.GNU-stack","",@progbits
	.addrsig
	.addrsig_sym __hip_cuid_4103f2d69ca2a2d3
	.amdgpu_metadata
---
amdhsa.kernels:
  - .args:
      - .offset:         0
        .size:           8
        .value_kind:     by_value
      - .offset:         8
        .size:           72
        .value_kind:     by_value
      - .offset:         80
        .size:           56
        .value_kind:     by_value
      - .offset:         136
        .size:           56
        .value_kind:     by_value
      - .address_space:  global
        .offset:         192
        .size:           8
        .value_kind:     global_buffer
      - .offset:         200
        .size:           8
        .value_kind:     by_value
      - .offset:         208
        .size:           4
        .value_kind:     hidden_block_count_x
      - .offset:         212
        .size:           4
        .value_kind:     hidden_block_count_y
      - .offset:         216
        .size:           4
        .value_kind:     hidden_block_count_z
      - .offset:         220
        .size:           2
        .value_kind:     hidden_group_size_x
      - .offset:         222
        .size:           2
        .value_kind:     hidden_group_size_y
      - .offset:         224
        .size:           2
        .value_kind:     hidden_group_size_z
      - .offset:         226
        .size:           2
        .value_kind:     hidden_remainder_x
      - .offset:         228
        .size:           2
        .value_kind:     hidden_remainder_y
      - .offset:         230
        .size:           2
        .value_kind:     hidden_remainder_z
      - .offset:         248
        .size:           8
        .value_kind:     hidden_global_offset_x
      - .offset:         256
        .size:           8
        .value_kind:     hidden_global_offset_y
      - .offset:         264
        .size:           8
        .value_kind:     hidden_global_offset_z
      - .offset:         272
        .size:           2
        .value_kind:     hidden_grid_dims
    .group_segment_fixed_size: 0
    .kernarg_segment_align: 8
    .kernarg_segment_size: 464
    .language:       OpenCL C
    .language_version:
      - 2
      - 0
    .max_flat_workgroup_size: 1024
    .name:           _ZN2at6native12_GLOBAL__N_135nll_loss2d_forward_no_reduce_kernelIdEEvlN5torch10headeronly6detail27GenericPackedTensorAccessorINS5_14TensorAccessorIN3c108ArrayRefIlEET_Lm3ENS4_16DefaultPtrTraitsElEENS_6detail16IndexBoundsCheckILm4ElEESB_Lm4ESC_lEENS6_INS7_ISA_lLm2ESC_lEENSF_ILm3ElEElLm3ESC_lEENS6_INS7_ISA_SB_Lm2ESC_lEESJ_SB_Lm3ESC_lEEPKSB_l
    .private_segment_fixed_size: 0
    .sgpr_count:     72
    .sgpr_spill_count: 0
    .symbol:         _ZN2at6native12_GLOBAL__N_135nll_loss2d_forward_no_reduce_kernelIdEEvlN5torch10headeronly6detail27GenericPackedTensorAccessorINS5_14TensorAccessorIN3c108ArrayRefIlEET_Lm3ENS4_16DefaultPtrTraitsElEENS_6detail16IndexBoundsCheckILm4ElEESB_Lm4ESC_lEENS6_INS7_ISA_lLm2ESC_lEENSF_ILm3ElEElLm3ESC_lEENS6_INS7_ISA_SB_Lm2ESC_lEESJ_SB_Lm3ESC_lEEPKSB_l.kd
    .uniform_work_group_size: 1
    .uses_dynamic_stack: false
    .vgpr_count:     22
    .vgpr_spill_count: 0
    .wavefront_size: 64
  - .args:
      - .offset:         0
        .size:           8
        .value_kind:     by_value
      - .offset:         8
        .size:           72
        .value_kind:     by_value
      - .offset:         80
        .size:           56
        .value_kind:     by_value
      - .offset:         136
        .size:           56
        .value_kind:     by_value
      - .address_space:  global
        .offset:         192
        .size:           8
        .value_kind:     global_buffer
      - .offset:         200
        .size:           8
        .value_kind:     by_value
      - .offset:         208
        .size:           4
        .value_kind:     hidden_block_count_x
      - .offset:         212
        .size:           4
        .value_kind:     hidden_block_count_y
      - .offset:         216
        .size:           4
        .value_kind:     hidden_block_count_z
      - .offset:         220
        .size:           2
        .value_kind:     hidden_group_size_x
      - .offset:         222
        .size:           2
        .value_kind:     hidden_group_size_y
      - .offset:         224
        .size:           2
        .value_kind:     hidden_group_size_z
      - .offset:         226
        .size:           2
        .value_kind:     hidden_remainder_x
      - .offset:         228
        .size:           2
        .value_kind:     hidden_remainder_y
      - .offset:         230
        .size:           2
        .value_kind:     hidden_remainder_z
      - .offset:         248
        .size:           8
        .value_kind:     hidden_global_offset_x
      - .offset:         256
        .size:           8
        .value_kind:     hidden_global_offset_y
      - .offset:         264
        .size:           8
        .value_kind:     hidden_global_offset_z
      - .offset:         272
        .size:           2
        .value_kind:     hidden_grid_dims
    .group_segment_fixed_size: 0
    .kernarg_segment_align: 8
    .kernarg_segment_size: 464
    .language:       OpenCL C
    .language_version:
      - 2
      - 0
    .max_flat_workgroup_size: 1024
    .name:           _ZN2at6native12_GLOBAL__N_135nll_loss2d_forward_no_reduce_kernelIfEEvlN5torch10headeronly6detail27GenericPackedTensorAccessorINS5_14TensorAccessorIN3c108ArrayRefIlEET_Lm3ENS4_16DefaultPtrTraitsElEENS_6detail16IndexBoundsCheckILm4ElEESB_Lm4ESC_lEENS6_INS7_ISA_lLm2ESC_lEENSF_ILm3ElEElLm3ESC_lEENS6_INS7_ISA_SB_Lm2ESC_lEESJ_SB_Lm3ESC_lEEPKSB_l
    .private_segment_fixed_size: 0
    .sgpr_count:     72
    .sgpr_spill_count: 0
    .symbol:         _ZN2at6native12_GLOBAL__N_135nll_loss2d_forward_no_reduce_kernelIfEEvlN5torch10headeronly6detail27GenericPackedTensorAccessorINS5_14TensorAccessorIN3c108ArrayRefIlEET_Lm3ENS4_16DefaultPtrTraitsElEENS_6detail16IndexBoundsCheckILm4ElEESB_Lm4ESC_lEENS6_INS7_ISA_lLm2ESC_lEENSF_ILm3ElEElLm3ESC_lEENS6_INS7_ISA_SB_Lm2ESC_lEESJ_SB_Lm3ESC_lEEPKSB_l.kd
    .uniform_work_group_size: 1
    .uses_dynamic_stack: false
    .vgpr_count:     22
    .vgpr_spill_count: 0
    .wavefront_size: 64
  - .args:
      - .offset:         0
        .size:           8
        .value_kind:     by_value
      - .offset:         8
        .size:           72
        .value_kind:     by_value
      - .offset:         80
        .size:           56
        .value_kind:     by_value
      - .offset:         136
        .size:           56
        .value_kind:     by_value
      - .address_space:  global
        .offset:         192
        .size:           8
        .value_kind:     global_buffer
      - .offset:         200
        .size:           8
        .value_kind:     by_value
      - .offset:         208
        .size:           4
        .value_kind:     hidden_block_count_x
      - .offset:         212
        .size:           4
        .value_kind:     hidden_block_count_y
      - .offset:         216
        .size:           4
        .value_kind:     hidden_block_count_z
      - .offset:         220
        .size:           2
        .value_kind:     hidden_group_size_x
      - .offset:         222
        .size:           2
        .value_kind:     hidden_group_size_y
      - .offset:         224
        .size:           2
        .value_kind:     hidden_group_size_z
      - .offset:         226
        .size:           2
        .value_kind:     hidden_remainder_x
      - .offset:         228
        .size:           2
        .value_kind:     hidden_remainder_y
      - .offset:         230
        .size:           2
        .value_kind:     hidden_remainder_z
      - .offset:         248
        .size:           8
        .value_kind:     hidden_global_offset_x
      - .offset:         256
        .size:           8
        .value_kind:     hidden_global_offset_y
      - .offset:         264
        .size:           8
        .value_kind:     hidden_global_offset_z
      - .offset:         272
        .size:           2
        .value_kind:     hidden_grid_dims
    .group_segment_fixed_size: 0
    .kernarg_segment_align: 8
    .kernarg_segment_size: 464
    .language:       OpenCL C
    .language_version:
      - 2
      - 0
    .max_flat_workgroup_size: 1024
    .name:           _ZN2at6native12_GLOBAL__N_135nll_loss2d_forward_no_reduce_kernelIN3c104HalfEEEvlN5torch10headeronly6detail27GenericPackedTensorAccessorINS7_14TensorAccessorINS3_8ArrayRefIlEET_Lm3ENS6_16DefaultPtrTraitsElEENS_6detail16IndexBoundsCheckILm4ElEESC_Lm4ESD_lEENS8_INS9_ISB_lLm2ESD_lEENSG_ILm3ElEElLm3ESD_lEENS8_INS9_ISB_SC_Lm2ESD_lEESK_SC_Lm3ESD_lEEPKSC_l
    .private_segment_fixed_size: 0
    .sgpr_count:     72
    .sgpr_spill_count: 0
    .symbol:         _ZN2at6native12_GLOBAL__N_135nll_loss2d_forward_no_reduce_kernelIN3c104HalfEEEvlN5torch10headeronly6detail27GenericPackedTensorAccessorINS7_14TensorAccessorINS3_8ArrayRefIlEET_Lm3ENS6_16DefaultPtrTraitsElEENS_6detail16IndexBoundsCheckILm4ElEESC_Lm4ESD_lEENS8_INS9_ISB_lLm2ESD_lEENSG_ILm3ElEElLm3ESD_lEENS8_INS9_ISB_SC_Lm2ESD_lEESK_SC_Lm3ESD_lEEPKSC_l.kd
    .uniform_work_group_size: 1
    .uses_dynamic_stack: false
    .vgpr_count:     22
    .vgpr_spill_count: 0
    .wavefront_size: 64
  - .args:
      - .offset:         0
        .size:           8
        .value_kind:     by_value
      - .offset:         8
        .size:           72
        .value_kind:     by_value
      - .offset:         80
        .size:           56
        .value_kind:     by_value
      - .offset:         136
        .size:           56
        .value_kind:     by_value
      - .address_space:  global
        .offset:         192
        .size:           8
        .value_kind:     global_buffer
      - .offset:         200
        .size:           8
        .value_kind:     by_value
      - .offset:         208
        .size:           4
        .value_kind:     hidden_block_count_x
      - .offset:         212
        .size:           4
        .value_kind:     hidden_block_count_y
      - .offset:         216
        .size:           4
        .value_kind:     hidden_block_count_z
      - .offset:         220
        .size:           2
        .value_kind:     hidden_group_size_x
      - .offset:         222
        .size:           2
        .value_kind:     hidden_group_size_y
      - .offset:         224
        .size:           2
        .value_kind:     hidden_group_size_z
      - .offset:         226
        .size:           2
        .value_kind:     hidden_remainder_x
      - .offset:         228
        .size:           2
        .value_kind:     hidden_remainder_y
      - .offset:         230
        .size:           2
        .value_kind:     hidden_remainder_z
      - .offset:         248
        .size:           8
        .value_kind:     hidden_global_offset_x
      - .offset:         256
        .size:           8
        .value_kind:     hidden_global_offset_y
      - .offset:         264
        .size:           8
        .value_kind:     hidden_global_offset_z
      - .offset:         272
        .size:           2
        .value_kind:     hidden_grid_dims
    .group_segment_fixed_size: 0
    .kernarg_segment_align: 8
    .kernarg_segment_size: 464
    .language:       OpenCL C
    .language_version:
      - 2
      - 0
    .max_flat_workgroup_size: 1024
    .name:           _ZN2at6native12_GLOBAL__N_135nll_loss2d_forward_no_reduce_kernelIN3c108BFloat16EEEvlN5torch10headeronly6detail27GenericPackedTensorAccessorINS7_14TensorAccessorINS3_8ArrayRefIlEET_Lm3ENS6_16DefaultPtrTraitsElEENS_6detail16IndexBoundsCheckILm4ElEESC_Lm4ESD_lEENS8_INS9_ISB_lLm2ESD_lEENSG_ILm3ElEElLm3ESD_lEENS8_INS9_ISB_SC_Lm2ESD_lEESK_SC_Lm3ESD_lEEPKSC_l
    .private_segment_fixed_size: 0
    .sgpr_count:     73
    .sgpr_spill_count: 0
    .symbol:         _ZN2at6native12_GLOBAL__N_135nll_loss2d_forward_no_reduce_kernelIN3c108BFloat16EEEvlN5torch10headeronly6detail27GenericPackedTensorAccessorINS7_14TensorAccessorINS3_8ArrayRefIlEET_Lm3ENS6_16DefaultPtrTraitsElEENS_6detail16IndexBoundsCheckILm4ElEESC_Lm4ESD_lEENS8_INS9_ISB_lLm2ESD_lEENSG_ILm3ElEElLm3ESD_lEENS8_INS9_ISB_SC_Lm2ESD_lEESK_SC_Lm3ESD_lEEPKSC_l.kd
    .uniform_work_group_size: 1
    .uses_dynamic_stack: false
    .vgpr_count:     24
    .vgpr_spill_count: 0
    .wavefront_size: 64
  - .args:
      - .address_space:  global
        .offset:         0
        .size:           8
        .value_kind:     global_buffer
      - .address_space:  global
        .offset:         8
        .size:           8
        .value_kind:     global_buffer
      - .address_space:  global
        .offset:         16
        .size:           8
        .value_kind:     global_buffer
      - .address_space:  global
        .offset:         24
        .size:           8
        .value_kind:     global_buffer
      - .address_space:  global
        .offset:         32
        .size:           8
        .value_kind:     global_buffer
      - .offset:         40
        .size:           4
        .value_kind:     by_value
      - .offset:         44
        .size:           4
        .value_kind:     by_value
      - .offset:         48
        .size:           4
        .value_kind:     by_value
      - .offset:         56
        .size:           8
        .value_kind:     by_value
      - .offset:         64
        .size:           4
        .value_kind:     hidden_block_count_x
      - .offset:         68
        .size:           4
        .value_kind:     hidden_block_count_y
      - .offset:         72
        .size:           4
        .value_kind:     hidden_block_count_z
      - .offset:         76
        .size:           2
        .value_kind:     hidden_group_size_x
      - .offset:         78
        .size:           2
        .value_kind:     hidden_group_size_y
      - .offset:         80
        .size:           2
        .value_kind:     hidden_group_size_z
      - .offset:         82
        .size:           2
        .value_kind:     hidden_remainder_x
      - .offset:         84
        .size:           2
        .value_kind:     hidden_remainder_y
      - .offset:         86
        .size:           2
        .value_kind:     hidden_remainder_z
      - .offset:         104
        .size:           8
        .value_kind:     hidden_global_offset_x
      - .offset:         112
        .size:           8
        .value_kind:     hidden_global_offset_y
      - .offset:         120
        .size:           8
        .value_kind:     hidden_global_offset_z
      - .offset:         128
        .size:           2
        .value_kind:     hidden_grid_dims
    .group_segment_fixed_size: 16384
    .kernarg_segment_align: 8
    .kernarg_segment_size: 320
    .language:       OpenCL C
    .language_version:
      - 2
      - 0
    .max_flat_workgroup_size: 1024
    .name:           _ZN2at6native12_GLOBAL__N_125nll_loss2d_forward_kernelIddiEEvPT_S4_PKS3_PKlS6_iiil
    .private_segment_fixed_size: 0
    .sgpr_count:     46
    .sgpr_spill_count: 0
    .symbol:         _ZN2at6native12_GLOBAL__N_125nll_loss2d_forward_kernelIddiEEvPT_S4_PKS3_PKlS6_iiil.kd
    .uniform_work_group_size: 1
    .uses_dynamic_stack: false
    .vgpr_count:     15
    .vgpr_spill_count: 0
    .wavefront_size: 64
  - .args:
      - .address_space:  global
        .offset:         0
        .size:           8
        .value_kind:     global_buffer
      - .address_space:  global
        .offset:         8
        .size:           8
        .value_kind:     global_buffer
    .group_segment_fixed_size: 0
    .kernarg_segment_align: 8
    .kernarg_segment_size: 16
    .language:       OpenCL C
    .language_version:
      - 2
      - 0
    .max_flat_workgroup_size: 1024
    .name:           _ZN2at6native12_GLOBAL__N_138nll_loss2d_forward_size_average_kernelIdEEvPT_PKS3_
    .private_segment_fixed_size: 0
    .sgpr_count:     12
    .sgpr_spill_count: 0
    .symbol:         _ZN2at6native12_GLOBAL__N_138nll_loss2d_forward_size_average_kernelIdEEvPT_PKS3_.kd
    .uniform_work_group_size: 1
    .uses_dynamic_stack: false
    .vgpr_count:     10
    .vgpr_spill_count: 0
    .wavefront_size: 64
  - .args:
      - .address_space:  global
        .offset:         0
        .size:           8
        .value_kind:     global_buffer
      - .address_space:  global
        .offset:         8
        .size:           8
        .value_kind:     global_buffer
      - .address_space:  global
        .offset:         16
        .size:           8
        .value_kind:     global_buffer
      - .address_space:  global
        .offset:         24
        .size:           8
        .value_kind:     global_buffer
      - .address_space:  global
        .offset:         32
        .size:           8
        .value_kind:     global_buffer
      - .offset:         40
        .size:           4
        .value_kind:     by_value
      - .offset:         44
        .size:           4
        .value_kind:     by_value
      - .offset:         48
        .size:           4
        .value_kind:     by_value
      - .offset:         56
        .size:           8
        .value_kind:     by_value
      - .offset:         64
        .size:           4
        .value_kind:     hidden_block_count_x
      - .offset:         68
        .size:           4
        .value_kind:     hidden_block_count_y
      - .offset:         72
        .size:           4
        .value_kind:     hidden_block_count_z
      - .offset:         76
        .size:           2
        .value_kind:     hidden_group_size_x
      - .offset:         78
        .size:           2
        .value_kind:     hidden_group_size_y
      - .offset:         80
        .size:           2
        .value_kind:     hidden_group_size_z
      - .offset:         82
        .size:           2
        .value_kind:     hidden_remainder_x
      - .offset:         84
        .size:           2
        .value_kind:     hidden_remainder_y
      - .offset:         86
        .size:           2
        .value_kind:     hidden_remainder_z
      - .offset:         104
        .size:           8
        .value_kind:     hidden_global_offset_x
      - .offset:         112
        .size:           8
        .value_kind:     hidden_global_offset_y
      - .offset:         120
        .size:           8
        .value_kind:     hidden_global_offset_z
      - .offset:         128
        .size:           2
        .value_kind:     hidden_grid_dims
    .group_segment_fixed_size: 16384
    .kernarg_segment_align: 8
    .kernarg_segment_size: 320
    .language:       OpenCL C
    .language_version:
      - 2
      - 0
    .max_flat_workgroup_size: 1024
    .name:           _ZN2at6native12_GLOBAL__N_125nll_loss2d_forward_kernelIddlEEvPT_S4_PKS3_PKlS6_iiil
    .private_segment_fixed_size: 0
    .sgpr_count:     46
    .sgpr_spill_count: 0
    .symbol:         _ZN2at6native12_GLOBAL__N_125nll_loss2d_forward_kernelIddlEEvPT_S4_PKS3_PKlS6_iiil.kd
    .uniform_work_group_size: 1
    .uses_dynamic_stack: false
    .vgpr_count:     17
    .vgpr_spill_count: 0
    .wavefront_size: 64
  - .args:
      - .address_space:  global
        .offset:         0
        .size:           8
        .value_kind:     global_buffer
      - .address_space:  global
        .offset:         8
        .size:           8
        .value_kind:     global_buffer
      - .address_space:  global
        .offset:         16
        .size:           8
        .value_kind:     global_buffer
      - .address_space:  global
        .offset:         24
        .size:           8
        .value_kind:     global_buffer
      - .address_space:  global
        .offset:         32
        .size:           8
        .value_kind:     global_buffer
      - .offset:         40
        .size:           4
        .value_kind:     by_value
      - .offset:         44
        .size:           4
        .value_kind:     by_value
      - .offset:         48
        .size:           4
        .value_kind:     by_value
      - .offset:         56
        .size:           8
        .value_kind:     by_value
      - .offset:         64
        .size:           4
        .value_kind:     hidden_block_count_x
      - .offset:         68
        .size:           4
        .value_kind:     hidden_block_count_y
      - .offset:         72
        .size:           4
        .value_kind:     hidden_block_count_z
      - .offset:         76
        .size:           2
        .value_kind:     hidden_group_size_x
      - .offset:         78
        .size:           2
        .value_kind:     hidden_group_size_y
      - .offset:         80
        .size:           2
        .value_kind:     hidden_group_size_z
      - .offset:         82
        .size:           2
        .value_kind:     hidden_remainder_x
      - .offset:         84
        .size:           2
        .value_kind:     hidden_remainder_y
      - .offset:         86
        .size:           2
        .value_kind:     hidden_remainder_z
      - .offset:         104
        .size:           8
        .value_kind:     hidden_global_offset_x
      - .offset:         112
        .size:           8
        .value_kind:     hidden_global_offset_y
      - .offset:         120
        .size:           8
        .value_kind:     hidden_global_offset_z
      - .offset:         128
        .size:           2
        .value_kind:     hidden_grid_dims
    .group_segment_fixed_size: 8192
    .kernarg_segment_align: 8
    .kernarg_segment_size: 320
    .language:       OpenCL C
    .language_version:
      - 2
      - 0
    .max_flat_workgroup_size: 1024
    .name:           _ZN2at6native12_GLOBAL__N_125nll_loss2d_forward_kernelIffiEEvPT_S4_PKS3_PKlS6_iiil
    .private_segment_fixed_size: 0
    .sgpr_count:     46
    .sgpr_spill_count: 0
    .symbol:         _ZN2at6native12_GLOBAL__N_125nll_loss2d_forward_kernelIffiEEvPT_S4_PKS3_PKlS6_iiil.kd
    .uniform_work_group_size: 1
    .uses_dynamic_stack: false
    .vgpr_count:     12
    .vgpr_spill_count: 0
    .wavefront_size: 64
  - .args:
      - .address_space:  global
        .offset:         0
        .size:           8
        .value_kind:     global_buffer
      - .address_space:  global
        .offset:         8
        .size:           8
        .value_kind:     global_buffer
    .group_segment_fixed_size: 0
    .kernarg_segment_align: 8
    .kernarg_segment_size: 16
    .language:       OpenCL C
    .language_version:
      - 2
      - 0
    .max_flat_workgroup_size: 1024
    .name:           _ZN2at6native12_GLOBAL__N_138nll_loss2d_forward_size_average_kernelIfEEvPT_PKS3_
    .private_segment_fixed_size: 0
    .sgpr_count:     10
    .sgpr_spill_count: 0
    .symbol:         _ZN2at6native12_GLOBAL__N_138nll_loss2d_forward_size_average_kernelIfEEvPT_PKS3_.kd
    .uniform_work_group_size: 1
    .uses_dynamic_stack: false
    .vgpr_count:     6
    .vgpr_spill_count: 0
    .wavefront_size: 64
  - .args:
      - .address_space:  global
        .offset:         0
        .size:           8
        .value_kind:     global_buffer
      - .address_space:  global
        .offset:         8
        .size:           8
        .value_kind:     global_buffer
      - .address_space:  global
        .offset:         16
        .size:           8
        .value_kind:     global_buffer
      - .address_space:  global
        .offset:         24
        .size:           8
        .value_kind:     global_buffer
      - .address_space:  global
        .offset:         32
        .size:           8
        .value_kind:     global_buffer
      - .offset:         40
        .size:           4
        .value_kind:     by_value
      - .offset:         44
        .size:           4
        .value_kind:     by_value
      - .offset:         48
        .size:           4
        .value_kind:     by_value
      - .offset:         56
        .size:           8
        .value_kind:     by_value
      - .offset:         64
        .size:           4
        .value_kind:     hidden_block_count_x
      - .offset:         68
        .size:           4
        .value_kind:     hidden_block_count_y
      - .offset:         72
        .size:           4
        .value_kind:     hidden_block_count_z
      - .offset:         76
        .size:           2
        .value_kind:     hidden_group_size_x
      - .offset:         78
        .size:           2
        .value_kind:     hidden_group_size_y
      - .offset:         80
        .size:           2
        .value_kind:     hidden_group_size_z
      - .offset:         82
        .size:           2
        .value_kind:     hidden_remainder_x
      - .offset:         84
        .size:           2
        .value_kind:     hidden_remainder_y
      - .offset:         86
        .size:           2
        .value_kind:     hidden_remainder_z
      - .offset:         104
        .size:           8
        .value_kind:     hidden_global_offset_x
      - .offset:         112
        .size:           8
        .value_kind:     hidden_global_offset_y
      - .offset:         120
        .size:           8
        .value_kind:     hidden_global_offset_z
      - .offset:         128
        .size:           2
        .value_kind:     hidden_grid_dims
    .group_segment_fixed_size: 8192
    .kernarg_segment_align: 8
    .kernarg_segment_size: 320
    .language:       OpenCL C
    .language_version:
      - 2
      - 0
    .max_flat_workgroup_size: 1024
    .name:           _ZN2at6native12_GLOBAL__N_125nll_loss2d_forward_kernelIfflEEvPT_S4_PKS3_PKlS6_iiil
    .private_segment_fixed_size: 0
    .sgpr_count:     46
    .sgpr_spill_count: 0
    .symbol:         _ZN2at6native12_GLOBAL__N_125nll_loss2d_forward_kernelIfflEEvPT_S4_PKS3_PKlS6_iiil.kd
    .uniform_work_group_size: 1
    .uses_dynamic_stack: false
    .vgpr_count:     13
    .vgpr_spill_count: 0
    .wavefront_size: 64
  - .args:
      - .address_space:  global
        .offset:         0
        .size:           8
        .value_kind:     global_buffer
      - .address_space:  global
        .offset:         8
        .size:           8
        .value_kind:     global_buffer
      - .address_space:  global
        .offset:         16
        .size:           8
        .value_kind:     global_buffer
      - .address_space:  global
        .offset:         24
        .size:           8
        .value_kind:     global_buffer
      - .address_space:  global
        .offset:         32
        .size:           8
        .value_kind:     global_buffer
      - .offset:         40
        .size:           4
        .value_kind:     by_value
      - .offset:         44
        .size:           4
        .value_kind:     by_value
      - .offset:         48
        .size:           4
        .value_kind:     by_value
      - .offset:         56
        .size:           8
        .value_kind:     by_value
      - .offset:         64
        .size:           4
        .value_kind:     hidden_block_count_x
      - .offset:         68
        .size:           4
        .value_kind:     hidden_block_count_y
      - .offset:         72
        .size:           4
        .value_kind:     hidden_block_count_z
      - .offset:         76
        .size:           2
        .value_kind:     hidden_group_size_x
      - .offset:         78
        .size:           2
        .value_kind:     hidden_group_size_y
      - .offset:         80
        .size:           2
        .value_kind:     hidden_group_size_z
      - .offset:         82
        .size:           2
        .value_kind:     hidden_remainder_x
      - .offset:         84
        .size:           2
        .value_kind:     hidden_remainder_y
      - .offset:         86
        .size:           2
        .value_kind:     hidden_remainder_z
      - .offset:         104
        .size:           8
        .value_kind:     hidden_global_offset_x
      - .offset:         112
        .size:           8
        .value_kind:     hidden_global_offset_y
      - .offset:         120
        .size:           8
        .value_kind:     hidden_global_offset_z
      - .offset:         128
        .size:           2
        .value_kind:     hidden_grid_dims
    .group_segment_fixed_size: 8192
    .kernarg_segment_align: 8
    .kernarg_segment_size: 320
    .language:       OpenCL C
    .language_version:
      - 2
      - 0
    .max_flat_workgroup_size: 1024
    .name:           _ZN2at6native12_GLOBAL__N_125nll_loss2d_forward_kernelIN3c104HalfEfiEEvPT_S6_PKS5_PKlS8_iiil
    .private_segment_fixed_size: 0
    .sgpr_count:     46
    .sgpr_spill_count: 0
    .symbol:         _ZN2at6native12_GLOBAL__N_125nll_loss2d_forward_kernelIN3c104HalfEfiEEvPT_S6_PKS5_PKlS8_iiil.kd
    .uniform_work_group_size: 1
    .uses_dynamic_stack: false
    .vgpr_count:     12
    .vgpr_spill_count: 0
    .wavefront_size: 64
  - .args:
      - .address_space:  global
        .offset:         0
        .size:           8
        .value_kind:     global_buffer
      - .address_space:  global
        .offset:         8
        .size:           8
        .value_kind:     global_buffer
    .group_segment_fixed_size: 0
    .kernarg_segment_align: 8
    .kernarg_segment_size: 16
    .language:       OpenCL C
    .language_version:
      - 2
      - 0
    .max_flat_workgroup_size: 1024
    .name:           _ZN2at6native12_GLOBAL__N_138nll_loss2d_forward_size_average_kernelIN3c104HalfEEEvPT_PKS5_
    .private_segment_fixed_size: 0
    .sgpr_count:     10
    .sgpr_spill_count: 0
    .symbol:         _ZN2at6native12_GLOBAL__N_138nll_loss2d_forward_size_average_kernelIN3c104HalfEEEvPT_PKS5_.kd
    .uniform_work_group_size: 1
    .uses_dynamic_stack: false
    .vgpr_count:     8
    .vgpr_spill_count: 0
    .wavefront_size: 64
  - .args:
      - .address_space:  global
        .offset:         0
        .size:           8
        .value_kind:     global_buffer
      - .address_space:  global
        .offset:         8
        .size:           8
        .value_kind:     global_buffer
      - .address_space:  global
        .offset:         16
        .size:           8
        .value_kind:     global_buffer
      - .address_space:  global
        .offset:         24
        .size:           8
        .value_kind:     global_buffer
      - .address_space:  global
        .offset:         32
        .size:           8
        .value_kind:     global_buffer
      - .offset:         40
        .size:           4
        .value_kind:     by_value
      - .offset:         44
        .size:           4
        .value_kind:     by_value
      - .offset:         48
        .size:           4
        .value_kind:     by_value
      - .offset:         56
        .size:           8
        .value_kind:     by_value
      - .offset:         64
        .size:           4
        .value_kind:     hidden_block_count_x
      - .offset:         68
        .size:           4
        .value_kind:     hidden_block_count_y
      - .offset:         72
        .size:           4
        .value_kind:     hidden_block_count_z
      - .offset:         76
        .size:           2
        .value_kind:     hidden_group_size_x
      - .offset:         78
        .size:           2
        .value_kind:     hidden_group_size_y
      - .offset:         80
        .size:           2
        .value_kind:     hidden_group_size_z
      - .offset:         82
        .size:           2
        .value_kind:     hidden_remainder_x
      - .offset:         84
        .size:           2
        .value_kind:     hidden_remainder_y
      - .offset:         86
        .size:           2
        .value_kind:     hidden_remainder_z
      - .offset:         104
        .size:           8
        .value_kind:     hidden_global_offset_x
      - .offset:         112
        .size:           8
        .value_kind:     hidden_global_offset_y
      - .offset:         120
        .size:           8
        .value_kind:     hidden_global_offset_z
      - .offset:         128
        .size:           2
        .value_kind:     hidden_grid_dims
    .group_segment_fixed_size: 8192
    .kernarg_segment_align: 8
    .kernarg_segment_size: 320
    .language:       OpenCL C
    .language_version:
      - 2
      - 0
    .max_flat_workgroup_size: 1024
    .name:           _ZN2at6native12_GLOBAL__N_125nll_loss2d_forward_kernelIN3c104HalfEflEEvPT_S6_PKS5_PKlS8_iiil
    .private_segment_fixed_size: 0
    .sgpr_count:     46
    .sgpr_spill_count: 0
    .symbol:         _ZN2at6native12_GLOBAL__N_125nll_loss2d_forward_kernelIN3c104HalfEflEEvPT_S6_PKS5_PKlS8_iiil.kd
    .uniform_work_group_size: 1
    .uses_dynamic_stack: false
    .vgpr_count:     13
    .vgpr_spill_count: 0
    .wavefront_size: 64
  - .args:
      - .address_space:  global
        .offset:         0
        .size:           8
        .value_kind:     global_buffer
      - .address_space:  global
        .offset:         8
        .size:           8
        .value_kind:     global_buffer
      - .address_space:  global
        .offset:         16
        .size:           8
        .value_kind:     global_buffer
      - .address_space:  global
        .offset:         24
        .size:           8
        .value_kind:     global_buffer
      - .address_space:  global
        .offset:         32
        .size:           8
        .value_kind:     global_buffer
      - .offset:         40
        .size:           4
        .value_kind:     by_value
      - .offset:         44
        .size:           4
        .value_kind:     by_value
      - .offset:         48
        .size:           4
        .value_kind:     by_value
      - .offset:         56
        .size:           8
        .value_kind:     by_value
      - .offset:         64
        .size:           4
        .value_kind:     hidden_block_count_x
      - .offset:         68
        .size:           4
        .value_kind:     hidden_block_count_y
      - .offset:         72
        .size:           4
        .value_kind:     hidden_block_count_z
      - .offset:         76
        .size:           2
        .value_kind:     hidden_group_size_x
      - .offset:         78
        .size:           2
        .value_kind:     hidden_group_size_y
      - .offset:         80
        .size:           2
        .value_kind:     hidden_group_size_z
      - .offset:         82
        .size:           2
        .value_kind:     hidden_remainder_x
      - .offset:         84
        .size:           2
        .value_kind:     hidden_remainder_y
      - .offset:         86
        .size:           2
        .value_kind:     hidden_remainder_z
      - .offset:         104
        .size:           8
        .value_kind:     hidden_global_offset_x
      - .offset:         112
        .size:           8
        .value_kind:     hidden_global_offset_y
      - .offset:         120
        .size:           8
        .value_kind:     hidden_global_offset_z
      - .offset:         128
        .size:           2
        .value_kind:     hidden_grid_dims
    .group_segment_fixed_size: 8192
    .kernarg_segment_align: 8
    .kernarg_segment_size: 320
    .language:       OpenCL C
    .language_version:
      - 2
      - 0
    .max_flat_workgroup_size: 1024
    .name:           _ZN2at6native12_GLOBAL__N_125nll_loss2d_forward_kernelIN3c108BFloat16EfiEEvPT_S6_PKS5_PKlS8_iiil
    .private_segment_fixed_size: 0
    .sgpr_count:     46
    .sgpr_spill_count: 0
    .symbol:         _ZN2at6native12_GLOBAL__N_125nll_loss2d_forward_kernelIN3c108BFloat16EfiEEvPT_S6_PKS5_PKlS8_iiil.kd
    .uniform_work_group_size: 1
    .uses_dynamic_stack: false
    .vgpr_count:     13
    .vgpr_spill_count: 0
    .wavefront_size: 64
  - .args:
      - .address_space:  global
        .offset:         0
        .size:           8
        .value_kind:     global_buffer
      - .address_space:  global
        .offset:         8
        .size:           8
        .value_kind:     global_buffer
    .group_segment_fixed_size: 0
    .kernarg_segment_align: 8
    .kernarg_segment_size: 16
    .language:       OpenCL C
    .language_version:
      - 2
      - 0
    .max_flat_workgroup_size: 1024
    .name:           _ZN2at6native12_GLOBAL__N_138nll_loss2d_forward_size_average_kernelIN3c108BFloat16EEEvPT_PKS5_
    .private_segment_fixed_size: 0
    .sgpr_count:     10
    .sgpr_spill_count: 0
    .symbol:         _ZN2at6native12_GLOBAL__N_138nll_loss2d_forward_size_average_kernelIN3c108BFloat16EEEvPT_PKS5_.kd
    .uniform_work_group_size: 1
    .uses_dynamic_stack: false
    .vgpr_count:     8
    .vgpr_spill_count: 0
    .wavefront_size: 64
  - .args:
      - .address_space:  global
        .offset:         0
        .size:           8
        .value_kind:     global_buffer
      - .address_space:  global
        .offset:         8
        .size:           8
        .value_kind:     global_buffer
      - .address_space:  global
        .offset:         16
        .size:           8
        .value_kind:     global_buffer
      - .address_space:  global
        .offset:         24
        .size:           8
        .value_kind:     global_buffer
      - .address_space:  global
        .offset:         32
        .size:           8
        .value_kind:     global_buffer
      - .offset:         40
        .size:           4
        .value_kind:     by_value
      - .offset:         44
        .size:           4
        .value_kind:     by_value
      - .offset:         48
        .size:           4
        .value_kind:     by_value
      - .offset:         56
        .size:           8
        .value_kind:     by_value
      - .offset:         64
        .size:           4
        .value_kind:     hidden_block_count_x
      - .offset:         68
        .size:           4
        .value_kind:     hidden_block_count_y
      - .offset:         72
        .size:           4
        .value_kind:     hidden_block_count_z
      - .offset:         76
        .size:           2
        .value_kind:     hidden_group_size_x
      - .offset:         78
        .size:           2
        .value_kind:     hidden_group_size_y
      - .offset:         80
        .size:           2
        .value_kind:     hidden_group_size_z
      - .offset:         82
        .size:           2
        .value_kind:     hidden_remainder_x
      - .offset:         84
        .size:           2
        .value_kind:     hidden_remainder_y
      - .offset:         86
        .size:           2
        .value_kind:     hidden_remainder_z
      - .offset:         104
        .size:           8
        .value_kind:     hidden_global_offset_x
      - .offset:         112
        .size:           8
        .value_kind:     hidden_global_offset_y
      - .offset:         120
        .size:           8
        .value_kind:     hidden_global_offset_z
      - .offset:         128
        .size:           2
        .value_kind:     hidden_grid_dims
    .group_segment_fixed_size: 8192
    .kernarg_segment_align: 8
    .kernarg_segment_size: 320
    .language:       OpenCL C
    .language_version:
      - 2
      - 0
    .max_flat_workgroup_size: 1024
    .name:           _ZN2at6native12_GLOBAL__N_125nll_loss2d_forward_kernelIN3c108BFloat16EflEEvPT_S6_PKS5_PKlS8_iiil
    .private_segment_fixed_size: 0
    .sgpr_count:     48
    .sgpr_spill_count: 0
    .symbol:         _ZN2at6native12_GLOBAL__N_125nll_loss2d_forward_kernelIN3c108BFloat16EflEEvPT_S6_PKS5_PKlS8_iiil.kd
    .uniform_work_group_size: 1
    .uses_dynamic_stack: false
    .vgpr_count:     14
    .vgpr_spill_count: 0
    .wavefront_size: 64
  - .args:
      - .offset:         0
        .size:           8
        .value_kind:     by_value
      - .offset:         8
        .size:           56
        .value_kind:     by_value
      - .offset:         64
        .size:           56
        .value_kind:     by_value
      - .offset:         120
        .size:           72
        .value_kind:     by_value
      - .address_space:  global
        .offset:         192
        .size:           8
        .value_kind:     global_buffer
      - .offset:         200
        .size:           8
        .value_kind:     by_value
      - .offset:         208
        .size:           4
        .value_kind:     hidden_block_count_x
      - .offset:         212
        .size:           4
        .value_kind:     hidden_block_count_y
      - .offset:         216
        .size:           4
        .value_kind:     hidden_block_count_z
      - .offset:         220
        .size:           2
        .value_kind:     hidden_group_size_x
      - .offset:         222
        .size:           2
        .value_kind:     hidden_group_size_y
      - .offset:         224
        .size:           2
        .value_kind:     hidden_group_size_z
      - .offset:         226
        .size:           2
        .value_kind:     hidden_remainder_x
      - .offset:         228
        .size:           2
        .value_kind:     hidden_remainder_y
      - .offset:         230
        .size:           2
        .value_kind:     hidden_remainder_z
      - .offset:         248
        .size:           8
        .value_kind:     hidden_global_offset_x
      - .offset:         256
        .size:           8
        .value_kind:     hidden_global_offset_y
      - .offset:         264
        .size:           8
        .value_kind:     hidden_global_offset_z
      - .offset:         272
        .size:           2
        .value_kind:     hidden_grid_dims
    .group_segment_fixed_size: 0
    .kernarg_segment_align: 8
    .kernarg_segment_size: 464
    .language:       OpenCL C
    .language_version:
      - 2
      - 0
    .max_flat_workgroup_size: 1024
    .name:           _ZN2at6native12_GLOBAL__N_136nll_loss2d_backward_no_reduce_kernelIdEEvlN5torch10headeronly6detail27GenericPackedTensorAccessorINS5_14TensorAccessorIN3c108ArrayRefIlEElLm2ENS4_16DefaultPtrTraitsElEENS_6detail16IndexBoundsCheckILm3ElEElLm3ESB_lEENS6_INS7_ISA_T_Lm2ESB_lEESF_SH_Lm3ESB_lEENS6_INS7_ISA_SH_Lm3ESB_lEENSE_ILm4ElEESH_Lm4ESB_lEEPKSH_l
    .private_segment_fixed_size: 0
    .sgpr_count:     72
    .sgpr_spill_count: 0
    .symbol:         _ZN2at6native12_GLOBAL__N_136nll_loss2d_backward_no_reduce_kernelIdEEvlN5torch10headeronly6detail27GenericPackedTensorAccessorINS5_14TensorAccessorIN3c108ArrayRefIlEElLm2ENS4_16DefaultPtrTraitsElEENS_6detail16IndexBoundsCheckILm3ElEElLm3ESB_lEENS6_INS7_ISA_T_Lm2ESB_lEESF_SH_Lm3ESB_lEENS6_INS7_ISA_SH_Lm3ESB_lEENSE_ILm4ElEESH_Lm4ESB_lEEPKSH_l.kd
    .uniform_work_group_size: 1
    .uses_dynamic_stack: false
    .vgpr_count:     22
    .vgpr_spill_count: 0
    .wavefront_size: 64
  - .args:
      - .offset:         0
        .size:           8
        .value_kind:     by_value
      - .offset:         8
        .size:           56
        .value_kind:     by_value
      - .offset:         64
        .size:           56
        .value_kind:     by_value
      - .offset:         120
        .size:           72
        .value_kind:     by_value
      - .address_space:  global
        .offset:         192
        .size:           8
        .value_kind:     global_buffer
      - .offset:         200
        .size:           8
        .value_kind:     by_value
      - .offset:         208
        .size:           4
        .value_kind:     hidden_block_count_x
      - .offset:         212
        .size:           4
        .value_kind:     hidden_block_count_y
      - .offset:         216
        .size:           4
        .value_kind:     hidden_block_count_z
      - .offset:         220
        .size:           2
        .value_kind:     hidden_group_size_x
      - .offset:         222
        .size:           2
        .value_kind:     hidden_group_size_y
      - .offset:         224
        .size:           2
        .value_kind:     hidden_group_size_z
      - .offset:         226
        .size:           2
        .value_kind:     hidden_remainder_x
      - .offset:         228
        .size:           2
        .value_kind:     hidden_remainder_y
      - .offset:         230
        .size:           2
        .value_kind:     hidden_remainder_z
      - .offset:         248
        .size:           8
        .value_kind:     hidden_global_offset_x
      - .offset:         256
        .size:           8
        .value_kind:     hidden_global_offset_y
      - .offset:         264
        .size:           8
        .value_kind:     hidden_global_offset_z
      - .offset:         272
        .size:           2
        .value_kind:     hidden_grid_dims
    .group_segment_fixed_size: 0
    .kernarg_segment_align: 8
    .kernarg_segment_size: 464
    .language:       OpenCL C
    .language_version:
      - 2
      - 0
    .max_flat_workgroup_size: 1024
    .name:           _ZN2at6native12_GLOBAL__N_136nll_loss2d_backward_no_reduce_kernelIfEEvlN5torch10headeronly6detail27GenericPackedTensorAccessorINS5_14TensorAccessorIN3c108ArrayRefIlEElLm2ENS4_16DefaultPtrTraitsElEENS_6detail16IndexBoundsCheckILm3ElEElLm3ESB_lEENS6_INS7_ISA_T_Lm2ESB_lEESF_SH_Lm3ESB_lEENS6_INS7_ISA_SH_Lm3ESB_lEENSE_ILm4ElEESH_Lm4ESB_lEEPKSH_l
    .private_segment_fixed_size: 0
    .sgpr_count:     72
    .sgpr_spill_count: 0
    .symbol:         _ZN2at6native12_GLOBAL__N_136nll_loss2d_backward_no_reduce_kernelIfEEvlN5torch10headeronly6detail27GenericPackedTensorAccessorINS5_14TensorAccessorIN3c108ArrayRefIlEElLm2ENS4_16DefaultPtrTraitsElEENS_6detail16IndexBoundsCheckILm3ElEElLm3ESB_lEENS6_INS7_ISA_T_Lm2ESB_lEESF_SH_Lm3ESB_lEENS6_INS7_ISA_SH_Lm3ESB_lEENSE_ILm4ElEESH_Lm4ESB_lEEPKSH_l.kd
    .uniform_work_group_size: 1
    .uses_dynamic_stack: false
    .vgpr_count:     24
    .vgpr_spill_count: 0
    .wavefront_size: 64
  - .args:
      - .offset:         0
        .size:           8
        .value_kind:     by_value
      - .offset:         8
        .size:           56
        .value_kind:     by_value
      - .offset:         64
        .size:           56
        .value_kind:     by_value
      - .offset:         120
        .size:           72
        .value_kind:     by_value
      - .address_space:  global
        .offset:         192
        .size:           8
        .value_kind:     global_buffer
      - .offset:         200
        .size:           8
        .value_kind:     by_value
      - .offset:         208
        .size:           4
        .value_kind:     hidden_block_count_x
      - .offset:         212
        .size:           4
        .value_kind:     hidden_block_count_y
      - .offset:         216
        .size:           4
        .value_kind:     hidden_block_count_z
      - .offset:         220
        .size:           2
        .value_kind:     hidden_group_size_x
      - .offset:         222
        .size:           2
        .value_kind:     hidden_group_size_y
      - .offset:         224
        .size:           2
        .value_kind:     hidden_group_size_z
      - .offset:         226
        .size:           2
        .value_kind:     hidden_remainder_x
      - .offset:         228
        .size:           2
        .value_kind:     hidden_remainder_y
      - .offset:         230
        .size:           2
        .value_kind:     hidden_remainder_z
      - .offset:         248
        .size:           8
        .value_kind:     hidden_global_offset_x
      - .offset:         256
        .size:           8
        .value_kind:     hidden_global_offset_y
      - .offset:         264
        .size:           8
        .value_kind:     hidden_global_offset_z
      - .offset:         272
        .size:           2
        .value_kind:     hidden_grid_dims
    .group_segment_fixed_size: 0
    .kernarg_segment_align: 8
    .kernarg_segment_size: 464
    .language:       OpenCL C
    .language_version:
      - 2
      - 0
    .max_flat_workgroup_size: 1024
    .name:           _ZN2at6native12_GLOBAL__N_136nll_loss2d_backward_no_reduce_kernelIN3c104HalfEEEvlN5torch10headeronly6detail27GenericPackedTensorAccessorINS7_14TensorAccessorINS3_8ArrayRefIlEElLm2ENS6_16DefaultPtrTraitsElEENS_6detail16IndexBoundsCheckILm3ElEElLm3ESC_lEENS8_INS9_ISB_T_Lm2ESC_lEESG_SI_Lm3ESC_lEENS8_INS9_ISB_SI_Lm3ESC_lEENSF_ILm4ElEESI_Lm4ESC_lEEPKSI_l
    .private_segment_fixed_size: 0
    .sgpr_count:     72
    .sgpr_spill_count: 0
    .symbol:         _ZN2at6native12_GLOBAL__N_136nll_loss2d_backward_no_reduce_kernelIN3c104HalfEEEvlN5torch10headeronly6detail27GenericPackedTensorAccessorINS7_14TensorAccessorINS3_8ArrayRefIlEElLm2ENS6_16DefaultPtrTraitsElEENS_6detail16IndexBoundsCheckILm3ElEElLm3ESC_lEENS8_INS9_ISB_T_Lm2ESC_lEESG_SI_Lm3ESC_lEENS8_INS9_ISB_SI_Lm3ESC_lEENSF_ILm4ElEESI_Lm4ESC_lEEPKSI_l.kd
    .uniform_work_group_size: 1
    .uses_dynamic_stack: false
    .vgpr_count:     24
    .vgpr_spill_count: 0
    .wavefront_size: 64
  - .args:
      - .offset:         0
        .size:           8
        .value_kind:     by_value
      - .offset:         8
        .size:           56
        .value_kind:     by_value
      - .offset:         64
        .size:           56
        .value_kind:     by_value
      - .offset:         120
        .size:           72
        .value_kind:     by_value
      - .address_space:  global
        .offset:         192
        .size:           8
        .value_kind:     global_buffer
      - .offset:         200
        .size:           8
        .value_kind:     by_value
      - .offset:         208
        .size:           4
        .value_kind:     hidden_block_count_x
      - .offset:         212
        .size:           4
        .value_kind:     hidden_block_count_y
      - .offset:         216
        .size:           4
        .value_kind:     hidden_block_count_z
      - .offset:         220
        .size:           2
        .value_kind:     hidden_group_size_x
      - .offset:         222
        .size:           2
        .value_kind:     hidden_group_size_y
      - .offset:         224
        .size:           2
        .value_kind:     hidden_group_size_z
      - .offset:         226
        .size:           2
        .value_kind:     hidden_remainder_x
      - .offset:         228
        .size:           2
        .value_kind:     hidden_remainder_y
      - .offset:         230
        .size:           2
        .value_kind:     hidden_remainder_z
      - .offset:         248
        .size:           8
        .value_kind:     hidden_global_offset_x
      - .offset:         256
        .size:           8
        .value_kind:     hidden_global_offset_y
      - .offset:         264
        .size:           8
        .value_kind:     hidden_global_offset_z
      - .offset:         272
        .size:           2
        .value_kind:     hidden_grid_dims
    .group_segment_fixed_size: 0
    .kernarg_segment_align: 8
    .kernarg_segment_size: 464
    .language:       OpenCL C
    .language_version:
      - 2
      - 0
    .max_flat_workgroup_size: 1024
    .name:           _ZN2at6native12_GLOBAL__N_136nll_loss2d_backward_no_reduce_kernelIN3c108BFloat16EEEvlN5torch10headeronly6detail27GenericPackedTensorAccessorINS7_14TensorAccessorINS3_8ArrayRefIlEElLm2ENS6_16DefaultPtrTraitsElEENS_6detail16IndexBoundsCheckILm3ElEElLm3ESC_lEENS8_INS9_ISB_T_Lm2ESC_lEESG_SI_Lm3ESC_lEENS8_INS9_ISB_SI_Lm3ESC_lEENSF_ILm4ElEESI_Lm4ESC_lEEPKSI_l
    .private_segment_fixed_size: 0
    .sgpr_count:     73
    .sgpr_spill_count: 0
    .symbol:         _ZN2at6native12_GLOBAL__N_136nll_loss2d_backward_no_reduce_kernelIN3c108BFloat16EEEvlN5torch10headeronly6detail27GenericPackedTensorAccessorINS7_14TensorAccessorINS3_8ArrayRefIlEElLm2ENS6_16DefaultPtrTraitsElEENS_6detail16IndexBoundsCheckILm3ElEElLm3ESC_lEENS8_INS9_ISB_T_Lm2ESC_lEESG_SI_Lm3ESC_lEENS8_INS9_ISB_SI_Lm3ESC_lEENSF_ILm4ElEESI_Lm4ESC_lEEPKSI_l.kd
    .uniform_work_group_size: 1
    .uses_dynamic_stack: false
    .vgpr_count:     24
    .vgpr_spill_count: 0
    .wavefront_size: 64
  - .args:
      - .address_space:  global
        .offset:         0
        .size:           8
        .value_kind:     global_buffer
      - .address_space:  global
        .offset:         8
        .size:           8
        .value_kind:     global_buffer
      - .address_space:  global
        .offset:         16
        .size:           8
        .value_kind:     global_buffer
      - .address_space:  global
        .offset:         24
        .size:           8
        .value_kind:     global_buffer
      - .address_space:  global
        .offset:         32
        .size:           8
        .value_kind:     global_buffer
      - .offset:         40
        .size:           1
        .value_kind:     by_value
      - .offset:         44
        .size:           4
        .value_kind:     by_value
      - .offset:         48
        .size:           4
        .value_kind:     by_value
      - .offset:         52
        .size:           4
        .value_kind:     by_value
      - .offset:         56
        .size:           8
        .value_kind:     by_value
      - .offset:         64
        .size:           4
        .value_kind:     hidden_block_count_x
      - .offset:         68
        .size:           4
        .value_kind:     hidden_block_count_y
      - .offset:         72
        .size:           4
        .value_kind:     hidden_block_count_z
      - .offset:         76
        .size:           2
        .value_kind:     hidden_group_size_x
      - .offset:         78
        .size:           2
        .value_kind:     hidden_group_size_y
      - .offset:         80
        .size:           2
        .value_kind:     hidden_group_size_z
      - .offset:         82
        .size:           2
        .value_kind:     hidden_remainder_x
      - .offset:         84
        .size:           2
        .value_kind:     hidden_remainder_y
      - .offset:         86
        .size:           2
        .value_kind:     hidden_remainder_z
      - .offset:         104
        .size:           8
        .value_kind:     hidden_global_offset_x
      - .offset:         112
        .size:           8
        .value_kind:     hidden_global_offset_y
      - .offset:         120
        .size:           8
        .value_kind:     hidden_global_offset_z
      - .offset:         128
        .size:           2
        .value_kind:     hidden_grid_dims
    .group_segment_fixed_size: 0
    .kernarg_segment_align: 8
    .kernarg_segment_size: 320
    .language:       OpenCL C
    .language_version:
      - 2
      - 0
    .max_flat_workgroup_size: 1024
    .name:           _ZN2at6native12_GLOBAL__N_126nll_loss2d_backward_kernelIdEEvPT_PKS3_PKlS6_S6_biiil
    .private_segment_fixed_size: 0
    .sgpr_count:     44
    .sgpr_spill_count: 0
    .symbol:         _ZN2at6native12_GLOBAL__N_126nll_loss2d_backward_kernelIdEEvPT_PKS3_PKlS6_S6_biiil.kd
    .uniform_work_group_size: 1
    .uses_dynamic_stack: false
    .vgpr_count:     15
    .vgpr_spill_count: 0
    .wavefront_size: 64
  - .args:
      - .address_space:  global
        .offset:         0
        .size:           8
        .value_kind:     global_buffer
      - .address_space:  global
        .offset:         8
        .size:           8
        .value_kind:     global_buffer
      - .address_space:  global
        .offset:         16
        .size:           8
        .value_kind:     global_buffer
      - .address_space:  global
        .offset:         24
        .size:           8
        .value_kind:     global_buffer
      - .address_space:  global
        .offset:         32
        .size:           8
        .value_kind:     global_buffer
      - .offset:         40
        .size:           1
        .value_kind:     by_value
      - .offset:         44
        .size:           4
        .value_kind:     by_value
      - .offset:         48
        .size:           4
        .value_kind:     by_value
      - .offset:         52
        .size:           4
        .value_kind:     by_value
      - .offset:         56
        .size:           8
        .value_kind:     by_value
      - .offset:         64
        .size:           4
        .value_kind:     hidden_block_count_x
      - .offset:         68
        .size:           4
        .value_kind:     hidden_block_count_y
      - .offset:         72
        .size:           4
        .value_kind:     hidden_block_count_z
      - .offset:         76
        .size:           2
        .value_kind:     hidden_group_size_x
      - .offset:         78
        .size:           2
        .value_kind:     hidden_group_size_y
      - .offset:         80
        .size:           2
        .value_kind:     hidden_group_size_z
      - .offset:         82
        .size:           2
        .value_kind:     hidden_remainder_x
      - .offset:         84
        .size:           2
        .value_kind:     hidden_remainder_y
      - .offset:         86
        .size:           2
        .value_kind:     hidden_remainder_z
      - .offset:         104
        .size:           8
        .value_kind:     hidden_global_offset_x
      - .offset:         112
        .size:           8
        .value_kind:     hidden_global_offset_y
      - .offset:         120
        .size:           8
        .value_kind:     hidden_global_offset_z
      - .offset:         128
        .size:           2
        .value_kind:     hidden_grid_dims
    .group_segment_fixed_size: 0
    .kernarg_segment_align: 8
    .kernarg_segment_size: 320
    .language:       OpenCL C
    .language_version:
      - 2
      - 0
    .max_flat_workgroup_size: 1024
    .name:           _ZN2at6native12_GLOBAL__N_126nll_loss2d_backward_kernelIfEEvPT_PKS3_PKlS6_S6_biiil
    .private_segment_fixed_size: 0
    .sgpr_count:     44
    .sgpr_spill_count: 0
    .symbol:         _ZN2at6native12_GLOBAL__N_126nll_loss2d_backward_kernelIfEEvPT_PKS3_PKlS6_S6_biiil.kd
    .uniform_work_group_size: 1
    .uses_dynamic_stack: false
    .vgpr_count:     12
    .vgpr_spill_count: 0
    .wavefront_size: 64
  - .args:
      - .address_space:  global
        .offset:         0
        .size:           8
        .value_kind:     global_buffer
      - .address_space:  global
        .offset:         8
        .size:           8
        .value_kind:     global_buffer
      - .address_space:  global
        .offset:         16
        .size:           8
        .value_kind:     global_buffer
      - .address_space:  global
        .offset:         24
        .size:           8
        .value_kind:     global_buffer
      - .address_space:  global
        .offset:         32
        .size:           8
        .value_kind:     global_buffer
      - .offset:         40
        .size:           1
        .value_kind:     by_value
      - .offset:         44
        .size:           4
        .value_kind:     by_value
      - .offset:         48
        .size:           4
        .value_kind:     by_value
      - .offset:         52
        .size:           4
        .value_kind:     by_value
      - .offset:         56
        .size:           8
        .value_kind:     by_value
      - .offset:         64
        .size:           4
        .value_kind:     hidden_block_count_x
      - .offset:         68
        .size:           4
        .value_kind:     hidden_block_count_y
      - .offset:         72
        .size:           4
        .value_kind:     hidden_block_count_z
      - .offset:         76
        .size:           2
        .value_kind:     hidden_group_size_x
      - .offset:         78
        .size:           2
        .value_kind:     hidden_group_size_y
      - .offset:         80
        .size:           2
        .value_kind:     hidden_group_size_z
      - .offset:         82
        .size:           2
        .value_kind:     hidden_remainder_x
      - .offset:         84
        .size:           2
        .value_kind:     hidden_remainder_y
      - .offset:         86
        .size:           2
        .value_kind:     hidden_remainder_z
      - .offset:         104
        .size:           8
        .value_kind:     hidden_global_offset_x
      - .offset:         112
        .size:           8
        .value_kind:     hidden_global_offset_y
      - .offset:         120
        .size:           8
        .value_kind:     hidden_global_offset_z
      - .offset:         128
        .size:           2
        .value_kind:     hidden_grid_dims
    .group_segment_fixed_size: 0
    .kernarg_segment_align: 8
    .kernarg_segment_size: 320
    .language:       OpenCL C
    .language_version:
      - 2
      - 0
    .max_flat_workgroup_size: 1024
    .name:           _ZN2at6native12_GLOBAL__N_126nll_loss2d_backward_kernelIN3c104HalfEEEvPT_PKS5_PKlS8_S8_biiil
    .private_segment_fixed_size: 0
    .sgpr_count:     44
    .sgpr_spill_count: 0
    .symbol:         _ZN2at6native12_GLOBAL__N_126nll_loss2d_backward_kernelIN3c104HalfEEEvPT_PKS5_PKlS8_S8_biiil.kd
    .uniform_work_group_size: 1
    .uses_dynamic_stack: false
    .vgpr_count:     12
    .vgpr_spill_count: 0
    .wavefront_size: 64
  - .args:
      - .address_space:  global
        .offset:         0
        .size:           8
        .value_kind:     global_buffer
      - .address_space:  global
        .offset:         8
        .size:           8
        .value_kind:     global_buffer
      - .address_space:  global
        .offset:         16
        .size:           8
        .value_kind:     global_buffer
      - .address_space:  global
        .offset:         24
        .size:           8
        .value_kind:     global_buffer
      - .address_space:  global
        .offset:         32
        .size:           8
        .value_kind:     global_buffer
      - .offset:         40
        .size:           1
        .value_kind:     by_value
      - .offset:         44
        .size:           4
        .value_kind:     by_value
      - .offset:         48
        .size:           4
        .value_kind:     by_value
      - .offset:         52
        .size:           4
        .value_kind:     by_value
      - .offset:         56
        .size:           8
        .value_kind:     by_value
      - .offset:         64
        .size:           4
        .value_kind:     hidden_block_count_x
      - .offset:         68
        .size:           4
        .value_kind:     hidden_block_count_y
      - .offset:         72
        .size:           4
        .value_kind:     hidden_block_count_z
      - .offset:         76
        .size:           2
        .value_kind:     hidden_group_size_x
      - .offset:         78
        .size:           2
        .value_kind:     hidden_group_size_y
      - .offset:         80
        .size:           2
        .value_kind:     hidden_group_size_z
      - .offset:         82
        .size:           2
        .value_kind:     hidden_remainder_x
      - .offset:         84
        .size:           2
        .value_kind:     hidden_remainder_y
      - .offset:         86
        .size:           2
        .value_kind:     hidden_remainder_z
      - .offset:         104
        .size:           8
        .value_kind:     hidden_global_offset_x
      - .offset:         112
        .size:           8
        .value_kind:     hidden_global_offset_y
      - .offset:         120
        .size:           8
        .value_kind:     hidden_global_offset_z
      - .offset:         128
        .size:           2
        .value_kind:     hidden_grid_dims
    .group_segment_fixed_size: 0
    .kernarg_segment_align: 8
    .kernarg_segment_size: 320
    .language:       OpenCL C
    .language_version:
      - 2
      - 0
    .max_flat_workgroup_size: 1024
    .name:           _ZN2at6native12_GLOBAL__N_126nll_loss2d_backward_kernelIN3c108BFloat16EEEvPT_PKS5_PKlS8_S8_biiil
    .private_segment_fixed_size: 0
    .sgpr_count:     46
    .sgpr_spill_count: 0
    .symbol:         _ZN2at6native12_GLOBAL__N_126nll_loss2d_backward_kernelIN3c108BFloat16EEEvPT_PKS5_PKlS8_S8_biiil.kd
    .uniform_work_group_size: 1
    .uses_dynamic_stack: false
    .vgpr_count:     11
    .vgpr_spill_count: 0
    .wavefront_size: 64
amdhsa.target:   amdgcn-amd-amdhsa--gfx906
amdhsa.version:
  - 1
  - 2
...

	.end_amdgpu_metadata
